;; amdgpu-corpus repo=ROCm/rocFFT kind=compiled arch=gfx1100 opt=O3
	.text
	.amdgcn_target "amdgcn-amd-amdhsa--gfx1100"
	.amdhsa_code_object_version 6
	.protected	bluestein_single_back_len425_dim1_dp_op_CI_CI ; -- Begin function bluestein_single_back_len425_dim1_dp_op_CI_CI
	.globl	bluestein_single_back_len425_dim1_dp_op_CI_CI
	.p2align	8
	.type	bluestein_single_back_len425_dim1_dp_op_CI_CI,@function
bluestein_single_back_len425_dim1_dp_op_CI_CI: ; @bluestein_single_back_len425_dim1_dp_op_CI_CI
; %bb.0:
	s_load_b128 s[16:19], s[0:1], 0x28
	v_mul_u32_u24_e32 v1, 0xf10, v0
	s_mov_b32 s2, exec_lo
	s_delay_alu instid0(VALU_DEP_1) | instskip(NEXT) | instid1(VALU_DEP_1)
	v_lshrrev_b32_e32 v1, 16, v1
	v_mad_u64_u32 v[175:176], null, s15, 3, v[1:2]
	v_mov_b32_e32 v176, 0
	s_waitcnt lgkmcnt(0)
	s_delay_alu instid0(VALU_DEP_1)
	v_cmpx_gt_u64_e64 s[16:17], v[175:176]
	s_cbranch_execz .LBB0_15
; %bb.1:
	s_clause 0x1
	s_load_b128 s[4:7], s[0:1], 0x18
	s_load_b64 s[12:13], s[0:1], 0x0
	v_mul_lo_u16 v1, v1, 17
	v_mul_hi_u32 v73, 0xaaaaaaab, v175
	v_mov_b32_e32 v176, v175
	s_delay_alu instid0(VALU_DEP_3) | instskip(NEXT) | instid1(VALU_DEP_3)
	v_sub_nc_u16 v4, v0, v1
	v_lshrrev_b32_e32 v73, 1, v73
	s_delay_alu instid0(VALU_DEP_2) | instskip(NEXT) | instid1(VALU_DEP_2)
	v_and_b32_e32 v170, 0xffff, v4
	v_lshl_add_u32 v141, v73, 1, v73
	s_waitcnt lgkmcnt(0)
	s_load_b128 s[8:11], s[4:5], 0x0
	s_delay_alu instid0(VALU_DEP_1)
	v_sub_nc_u32_e32 v141, v175, v141
	s_waitcnt lgkmcnt(0)
	v_mad_u64_u32 v[0:1], null, s10, v175, 0
	v_mad_u64_u32 v[2:3], null, s8, v170, 0
	s_mul_i32 s3, s9, 25
	s_mul_hi_u32 s4, s8, 25
	s_delay_alu instid0(SALU_CYCLE_1) | instskip(NEXT) | instid1(VALU_DEP_1)
	s_add_i32 s3, s4, s3
	v_mad_u64_u32 v[5:6], null, s11, v175, v[1:2]
	s_delay_alu instid0(VALU_DEP_1) | instskip(NEXT) | instid1(VALU_DEP_3)
	v_mov_b32_e32 v1, v5
	v_mad_u64_u32 v[6:7], null, s9, v170, v[3:4]
	v_lshlrev_b32_e32 v225, 4, v170
	s_clause 0x1
	global_load_b128 v[197:200], v225, s[12:13]
	global_load_b128 v[209:212], v225, s[12:13] offset:400
	v_mov_b32_e32 v3, v6
	v_lshlrev_b64 v[0:1], 4, v[0:1]
	v_add_co_u32 v11, s2, s12, v225
	s_delay_alu instid0(VALU_DEP_1) | instskip(NEXT) | instid1(VALU_DEP_4)
	v_add_co_ci_u32_e64 v12, null, s13, 0, s2
	v_lshlrev_b64 v[5:6], 4, v[2:3]
	s_delay_alu instid0(VALU_DEP_4) | instskip(SKIP_2) | instid1(VALU_DEP_2)
	v_add_co_u32 v2, vcc_lo, s18, v0
	v_add_co_ci_u32_e32 v3, vcc_lo, s19, v1, vcc_lo
	s_mul_i32 s2, s8, 25
	v_add_co_u32 v0, vcc_lo, v2, v5
	s_delay_alu instid0(VALU_DEP_2)
	v_add_co_ci_u32_e32 v1, vcc_lo, v3, v6, vcc_lo
	s_lshl_b64 s[14:15], s[2:3], 4
	s_clause 0x1
	global_load_b128 v[193:196], v225, s[12:13] offset:800
	global_load_b128 v[189:192], v225, s[12:13] offset:1200
	v_add_co_u32 v9, vcc_lo, v0, s14
	v_add_co_ci_u32_e32 v10, vcc_lo, s15, v1, vcc_lo
	v_add_co_u32 v69, vcc_lo, 0x1000, v11
	v_add_co_ci_u32_e32 v70, vcc_lo, 0, v12, vcc_lo
	s_delay_alu instid0(VALU_DEP_4) | instskip(NEXT) | instid1(VALU_DEP_4)
	v_add_co_u32 v13, vcc_lo, v9, s14
	v_add_co_ci_u32_e32 v14, vcc_lo, s15, v10, vcc_lo
	s_clause 0x3
	global_load_b128 v[177:180], v225, s[12:13] offset:1600
	global_load_b128 v[162:165], v225, s[12:13] offset:2000
	;; [unrolled: 1-line block ×4, first 2 shown]
	v_add_co_u32 v17, vcc_lo, v13, s14
	v_add_co_ci_u32_e32 v18, vcc_lo, s15, v14, vcc_lo
	s_clause 0x2
	global_load_b128 v[150:153], v225, s[12:13] offset:3200
	global_load_b128 v[154:157], v225, s[12:13] offset:3600
	;; [unrolled: 1-line block ×3, first 2 shown]
	v_add_co_u32 v21, vcc_lo, v17, s14
	v_add_co_ci_u32_e32 v22, vcc_lo, s15, v18, vcc_lo
	scratch_store_b64 off, v[11:12], off offset:160 ; 8-byte Folded Spill
	s_clause 0x3
	global_load_b128 v[166:169], v[69:70], off offset:304
	global_load_b128 v[171:174], v[69:70], off offset:704
	;; [unrolled: 1-line block ×4, first 2 shown]
	s_clause 0x1
	global_load_b128 v[5:8], v[0:1], off
	global_load_b128 v[9:12], v[9:10], off
	v_add_co_u32 v0, vcc_lo, v21, s14
	v_add_co_ci_u32_e32 v1, vcc_lo, s15, v22, vcc_lo
	s_clause 0x1
	global_load_b128 v[13:16], v[13:14], off
	global_load_b128 v[17:20], v[17:18], off
	v_add_co_u32 v29, vcc_lo, v0, s14
	v_add_co_ci_u32_e32 v30, vcc_lo, s15, v1, vcc_lo
	global_load_b128 v[25:28], v[0:1], off
	v_add_co_u32 v33, vcc_lo, v29, s14
	v_add_co_ci_u32_e32 v34, vcc_lo, s15, v30, vcc_lo
	;; [unrolled: 3-line block ×11, first 2 shown]
	global_load_b128 v[61:64], v[61:62], off
	global_load_b128 v[65:68], v[65:66], off
	global_load_b128 v[201:204], v[69:70], off offset:1904
	scratch_store_b64 off, v[69:70], off offset:168 ; 8-byte Folded Spill
	global_load_b128 v[205:208], v[69:70], off offset:2304
	global_load_b128 v[69:72], v[0:1], off
	v_cmp_gt_u16_e32 vcc_lo, 8, v4
	v_or_b32_e32 v4, 0xc0, v170
	s_waitcnt vmcnt(33)
	scratch_store_b128 off, v[197:200], off offset:392 ; 16-byte Folded Spill
	s_waitcnt vmcnt(32)
	scratch_store_b128 off, v[209:212], off offset:440 ; 16-byte Folded Spill
	s_waitcnt vmcnt(31)
	scratch_store_b128 off, v[193:196], off offset:376 ; 16-byte Folded Spill
	s_waitcnt vmcnt(30)
	scratch_store_b128 off, v[189:192], off offset:360 ; 16-byte Folded Spill
	s_waitcnt vmcnt(29)
	s_clause 0x1
	scratch_store_b64 off, v[176:177], off offset:304
	scratch_store_b128 off, v[177:180], off offset:312
	s_waitcnt vmcnt(28)
	scratch_store_b128 off, v[162:165], off offset:256 ; 16-byte Folded Spill
	s_waitcnt vmcnt(26)
	scratch_store_b128 off, v[146:149], off offset:192 ; 16-byte Folded Spill
	;; [unrolled: 2-line block ×7, first 2 shown]
	s_waitcnt vmcnt(18)
	v_mul_f64 v[73:74], v[7:8], v[199:200]
	v_mul_f64 v[75:76], v[5:6], v[199:200]
	s_waitcnt vmcnt(17)
	v_mul_f64 v[77:78], v[11:12], v[211:212]
	v_mul_f64 v[79:80], v[9:10], v[211:212]
	scratch_store_b128 off, v[181:184], off offset:328 ; 16-byte Folded Spill
	s_waitcnt vmcnt(16)
	v_mul_f64 v[81:82], v[15:16], v[195:196]
	v_mul_f64 v[83:84], v[13:14], v[195:196]
	s_waitcnt vmcnt(15)
	v_mul_f64 v[85:86], v[19:20], v[191:192]
	v_mul_f64 v[87:88], v[17:18], v[191:192]
	scratch_store_b128 off, v[185:188], off offset:344 ; 16-byte Folded Spill
	s_waitcnt vmcnt(14)
	v_mul_f64 v[93:94], v[27:28], v[164:165]
	v_mul_f64 v[95:96], v[25:26], v[164:165]
	s_waitcnt vmcnt(13)
	v_mul_f64 v[89:90], v[23:24], v[179:180]
	v_mul_f64 v[91:92], v[21:22], v[179:180]
	;; [unrolled: 3-line block ×6, first 2 shown]
	v_fma_f64 v[5:6], v[5:6], v[197:198], v[73:74]
	v_fma_f64 v[7:8], v[7:8], v[197:198], -v[75:76]
	v_fma_f64 v[9:10], v[9:10], v[209:210], v[77:78]
	s_waitcnt vmcnt(8)
	v_mul_f64 v[117:118], v[51:52], v[168:169]
	v_mul_f64 v[119:120], v[49:50], v[168:169]
	v_fma_f64 v[11:12], v[11:12], v[209:210], -v[79:80]
	v_fma_f64 v[13:14], v[13:14], v[193:194], v[81:82]
	v_fma_f64 v[15:16], v[15:16], v[193:194], -v[83:84]
	s_waitcnt vmcnt(7)
	v_mul_f64 v[121:122], v[55:56], v[173:174]
	v_mul_f64 v[123:124], v[53:54], v[173:174]
	v_fma_f64 v[17:18], v[17:18], v[189:190], v[85:86]
	v_fma_f64 v[19:20], v[19:20], v[189:190], -v[87:88]
	v_fma_f64 v[25:26], v[25:26], v[162:163], v[93:94]
	s_waitcnt vmcnt(6)
	v_mul_f64 v[125:126], v[59:60], v[183:184]
	v_mul_f64 v[127:128], v[57:58], v[183:184]
	v_fma_f64 v[27:28], v[27:28], v[162:163], -v[95:96]
	v_fma_f64 v[21:22], v[21:22], v[177:178], v[89:90]
	v_fma_f64 v[23:24], v[23:24], v[177:178], -v[91:92]
	s_waitcnt vmcnt(5)
	v_mul_f64 v[113:114], v[47:48], v[160:161]
	v_mul_f64 v[115:116], v[45:46], v[160:161]
	v_mul_u32_u24_e32 v73, 0x1a9, v141
	s_waitcnt vmcnt(4)
	v_mul_f64 v[129:130], v[63:64], v[187:188]
	v_mul_f64 v[131:132], v[61:62], v[187:188]
	s_waitcnt vmcnt(2)
	v_mul_f64 v[133:134], v[67:68], v[203:204]
	v_mul_f64 v[135:136], v[65:66], v[203:204]
	;; [unrolled: 3-line block ×3, first 2 shown]
	v_fma_f64 v[29:30], v[29:30], v[142:143], v[97:98]
	v_fma_f64 v[31:32], v[31:32], v[142:143], -v[99:100]
	v_fma_f64 v[37:38], v[37:38], v[150:151], v[105:106]
	v_fma_f64 v[39:40], v[39:40], v[150:151], -v[107:108]
	;; [unrolled: 2-line block ×3, first 2 shown]
	v_lshlrev_b32_e32 v73, 4, v73
	s_clause 0x2
	scratch_store_b128 off, v[142:145], off offset:176
	scratch_store_b128 off, v[201:204], off offset:408
	;; [unrolled: 1-line block ×3, first 2 shown]
	v_fma_f64 v[41:42], v[41:42], v[154:155], v[109:110]
	v_fma_f64 v[43:44], v[43:44], v[154:155], -v[111:112]
	scratch_store_b32 off, v73, off offset:12 ; 4-byte Folded Spill
	s_load_b64 s[10:11], s[0:1], 0x38
	s_load_b128 s[4:7], s[6:7], 0x0
	v_fma_f64 v[49:50], v[49:50], v[166:167], v[117:118]
	v_fma_f64 v[51:52], v[51:52], v[166:167], -v[119:120]
	v_add_nc_u32_e32 v224, v225, v73
	v_fma_f64 v[53:54], v[53:54], v[171:172], v[121:122]
	v_fma_f64 v[55:56], v[55:56], v[171:172], -v[123:124]
	v_fma_f64 v[57:58], v[57:58], v[181:182], v[125:126]
	v_fma_f64 v[59:60], v[59:60], v[181:182], -v[127:128]
	;; [unrolled: 2-line block ×3, first 2 shown]
	ds_store_b128 v224, v[5:8]
	ds_store_b128 v224, v[9:12] offset:400
	ds_store_b128 v224, v[13:16] offset:800
	;; [unrolled: 1-line block ×11, first 2 shown]
	v_fma_f64 v[61:62], v[61:62], v[185:186], v[129:130]
	v_fma_f64 v[63:64], v[63:64], v[185:186], -v[131:132]
	v_fma_f64 v[65:66], v[65:66], v[201:202], v[133:134]
	v_fma_f64 v[67:68], v[67:68], v[201:202], -v[135:136]
	;; [unrolled: 2-line block ×3, first 2 shown]
	s_clause 0x1
	scratch_store_b32 off, v4, off offset:1408
	scratch_store_b32 off, v170, off
	v_or_b32_e32 v4, 0x188, v170
	scratch_store_b32 off, v4, off offset:1404 ; 4-byte Folded Spill
	ds_store_b128 v224, v[53:56] offset:4800
	ds_store_b128 v224, v[57:60] offset:5200
	;; [unrolled: 1-line block ×5, first 2 shown]
	s_and_saveexec_b32 s3, vcc_lo
	s_cbranch_execz .LBB0_3
; %bb.2:
	s_clause 0x1
	scratch_load_b32 v44, off, off
	scratch_load_b64 v[88:89], off, off offset:160
	v_mad_u64_u32 v[12:13], null, 0xffffe810, s8, v[0:1]
	s_mul_i32 s2, s9, 0xffffe810
	s_mul_i32 s16, s9, 0x320
	s_sub_i32 s2, s2, s8
	s_waitcnt vmcnt(0)
	s_clause 0x1
	global_load_b128 v[4:7], v[88:89], off offset:272
	global_load_b128 v[8:11], v[88:89], off offset:672
	v_or_b32_e32 v70, 0x188, v44
	v_or_b32_e32 v18, 0xc0, v44
	s_delay_alu instid0(VALU_DEP_2) | instskip(SKIP_2) | instid1(VALU_DEP_4)
	v_mad_u64_u32 v[68:69], null, s8, v70, 0
	v_add_nc_u32_e32 v13, s2, v13
	v_add_co_u32 v16, s2, v12, s14
	v_mad_u64_u32 v[0:1], null, s8, v18, 0
	v_lshlrev_b32_e32 v72, 4, v70
	v_mov_b32_e32 v60, v69
	v_add_co_ci_u32_e64 v17, s2, s15, v13, s2
	v_add_co_u32 v20, s2, v16, s14
	v_mad_u64_u32 v[36:37], null, s9, v18, v[1:2]
	s_delay_alu instid0(VALU_DEP_3) | instskip(NEXT) | instid1(VALU_DEP_3)
	v_add_co_ci_u32_e64 v21, s2, s15, v17, s2
	v_add_co_u32 v28, s2, v20, s14
	global_load_b128 v[12:15], v[12:13], off
	v_add_co_ci_u32_e64 v29, s2, s15, v21, s2
	v_add_co_u32 v37, s2, v28, s14
	v_mov_b32_e32 v1, v36
	s_delay_alu instid0(VALU_DEP_3) | instskip(NEXT) | instid1(VALU_DEP_3)
	v_add_co_ci_u32_e64 v38, s2, s15, v29, s2
	v_add_co_u32 v40, s2, v37, s14
	s_delay_alu instid0(VALU_DEP_3) | instskip(NEXT) | instid1(VALU_DEP_3)
	v_lshlrev_b64 v[0:1], 4, v[0:1]
	v_add_co_ci_u32_e64 v41, s2, s15, v38, s2
	s_delay_alu instid0(VALU_DEP_3)
	v_add_co_u32 v52, s2, v40, s14
	global_load_b128 v[16:19], v[16:17], off
	global_load_b128 v[20:23], v[20:21], off
	;; [unrolled: 1-line block ×3, first 2 shown]
	v_add_co_ci_u32_e64 v53, s2, s15, v41, s2
	v_add_co_u32 v0, s2, v2, v0
	s_delay_alu instid0(VALU_DEP_1) | instskip(NEXT) | instid1(VALU_DEP_3)
	v_add_co_ci_u32_e64 v1, s2, v3, v1, s2
	v_mad_u64_u32 v[76:77], null, 0x320, s8, v[52:53]
	s_clause 0x1
	global_load_b128 v[28:31], v[88:89], off offset:1072
	global_load_b128 v[32:35], v[88:89], off offset:1472
	global_load_b128 v[36:39], v[37:38], off
	global_load_b128 v[40:43], v[40:41], off
	s_clause 0x1
	global_load_b128 v[44:47], v[88:89], off offset:1872
	global_load_b128 v[48:51], v[88:89], off offset:2272
	global_load_b128 v[52:55], v[52:53], off
	global_load_b128 v[56:59], v[0:1], off
	v_mad_u64_u32 v[0:1], null, s9, v70, v[60:61]
	v_add_nc_u32_e32 v77, s16, v77
	v_add_co_u32 v80, s2, v76, s14
	s_clause 0x1
	global_load_b128 v[60:63], v[88:89], off offset:2672
	global_load_b128 v[64:67], v[88:89], off offset:3072
	v_add_co_ci_u32_e64 v81, s2, s15, v77, s2
	v_add_co_u32 v92, s2, v80, s14
	v_mov_b32_e32 v69, v0
	s_delay_alu instid0(VALU_DEP_3) | instskip(NEXT) | instid1(VALU_DEP_3)
	v_add_co_ci_u32_e64 v93, s2, s15, v81, s2
	v_add_co_u32 v96, s2, v92, s14
	s_delay_alu instid0(VALU_DEP_3) | instskip(NEXT) | instid1(VALU_DEP_3)
	v_lshlrev_b64 v[0:1], 4, v[68:69]
	v_add_co_ci_u32_e64 v97, s2, s15, v93, s2
	s_delay_alu instid0(VALU_DEP_3) | instskip(NEXT) | instid1(VALU_DEP_1)
	v_add_co_u32 v100, s2, v96, s14
	v_add_co_ci_u32_e64 v101, s2, s15, v97, s2
	s_delay_alu instid0(VALU_DEP_4) | instskip(NEXT) | instid1(VALU_DEP_1)
	v_add_co_u32 v0, s2, v2, v0
	v_add_co_ci_u32_e64 v1, s2, v3, v1, s2
	global_load_b128 v[0:3], v[0:1], off
	scratch_load_b64 v[128:129], off, off offset:168 ; 8-byte Folded Reload
	v_add_co_u32 v112, s2, v100, s14
	s_delay_alu instid0(VALU_DEP_1)
	v_add_co_ci_u32_e64 v113, s2, s15, v101, s2
	s_waitcnt vmcnt(0)
	s_clause 0x1
	global_load_b128 v[68:71], v[128:129], off offset:176
	global_load_b128 v[72:75], v72, s[12:13]
	v_add_co_u32 v120, s2, v112, s14
	s_delay_alu instid0(VALU_DEP_1)
	v_add_co_ci_u32_e64 v121, s2, s15, v113, s2
	global_load_b128 v[76:79], v[76:77], off
	global_load_b128 v[80:83], v[80:81], off
	s_clause 0x1
	global_load_b128 v[84:87], v[88:89], off offset:3472
	global_load_b128 v[88:91], v[88:89], off offset:3872
	global_load_b128 v[92:95], v[92:93], off
	global_load_b128 v[96:99], v[96:97], off
	;; [unrolled: 1-line block ×3, first 2 shown]
	s_clause 0x1
	global_load_b128 v[104:107], v[128:129], off offset:576
	global_load_b128 v[108:111], v[128:129], off offset:976
	global_load_b128 v[112:115], v[112:113], off
	v_mul_f64 v[136:137], v[14:15], v[6:7]
	v_mad_u64_u32 v[132:133], null, 0x320, s8, v[120:121]
	v_mul_f64 v[6:7], v[12:13], v[6:7]
	v_mul_f64 v[138:139], v[18:19], v[10:11]
	;; [unrolled: 1-line block ×6, first 2 shown]
	v_add_nc_u32_e32 v133, s16, v133
	global_load_b128 v[116:119], v[128:129], off offset:1376
	global_load_b128 v[120:123], v[120:121], off
	s_clause 0x1
	global_load_b128 v[124:127], v[128:129], off offset:1776
	global_load_b128 v[128:131], v[128:129], off offset:2576
	global_load_b128 v[132:135], v[132:133], off
	v_mul_f64 v[34:35], v[24:25], v[34:35]
	v_mul_f64 v[146:147], v[38:39], v[46:47]
	;; [unrolled: 1-line block ×9, first 2 shown]
	v_fma_f64 v[10:11], v[12:13], v[4:5], v[136:137]
	v_fma_f64 v[12:13], v[14:15], v[4:5], -v[6:7]
	v_fma_f64 v[4:5], v[16:17], v[8:9], v[138:139]
	v_fma_f64 v[6:7], v[18:19], v[8:9], -v[140:141]
	;; [unrolled: 2-line block ×8, first 2 shown]
	s_waitcnt vmcnt(15)
	v_mul_f64 v[150:151], v[2:3], v[74:75]
	s_waitcnt vmcnt(10)
	v_mul_f64 v[160:161], v[94:95], v[70:71]
	v_mul_f64 v[70:71], v[92:93], v[70:71]
	;; [unrolled: 1-line block ×7, first 2 shown]
	s_waitcnt vmcnt(7)
	v_mul_f64 v[162:163], v[98:99], v[106:107]
	v_mul_f64 v[106:107], v[96:97], v[106:107]
	s_waitcnt vmcnt(6)
	v_mul_f64 v[164:165], v[102:103], v[110:111]
	v_mul_f64 v[110:111], v[100:101], v[110:111]
	;; [unrolled: 3-line block ×5, first 2 shown]
	v_fma_f64 v[0:1], v[0:1], v[72:73], v[150:151]
	v_fma_f64 v[46:47], v[92:93], v[68:69], v[160:161]
	v_fma_f64 v[48:49], v[94:95], v[68:69], -v[70:71]
	v_fma_f64 v[2:3], v[2:3], v[72:73], -v[74:75]
	v_fma_f64 v[42:43], v[80:81], v[88:89], v[158:159]
	v_fma_f64 v[38:39], v[76:77], v[84:85], v[156:157]
	v_fma_f64 v[40:41], v[78:79], v[84:85], -v[86:87]
	v_fma_f64 v[44:45], v[82:83], v[88:89], -v[90:91]
	v_fma_f64 v[50:51], v[96:97], v[104:105], v[162:163]
	v_fma_f64 v[52:53], v[98:99], v[104:105], -v[106:107]
	v_fma_f64 v[54:55], v[100:101], v[108:109], v[164:165]
	;; [unrolled: 2-line block ×5, first 2 shown]
	v_fma_f64 v[68:69], v[134:135], v[128:129], -v[130:131]
	ds_store_b128 v224, v[10:13] offset:272
	ds_store_b128 v224, v[4:7] offset:672
	;; [unrolled: 1-line block ×17, first 2 shown]
.LBB0_3:
	s_or_b32 exec_lo, exec_lo, s3
	s_waitcnt lgkmcnt(0)
	s_waitcnt_vscnt null, 0x0
	s_barrier
	buffer_gl0_inv
	ds_load_b128 v[68:71], v224
	ds_load_b128 v[24:27], v224 offset:400
	ds_load_b128 v[96:99], v224 offset:800
	;; [unrolled: 1-line block ×16, first 2 shown]
	s_load_b64 s[0:1], s[0:1], 0x8
                                        ; implicit-def: $vgpr8_vgpr9
                                        ; implicit-def: $vgpr20_vgpr21
                                        ; implicit-def: $vgpr72_vgpr73
                                        ; implicit-def: $vgpr76_vgpr77
                                        ; implicit-def: $vgpr80_vgpr81
                                        ; implicit-def: $vgpr84_vgpr85
                                        ; implicit-def: $vgpr88_vgpr89
                                        ; implicit-def: $vgpr92_vgpr93
                                        ; implicit-def: $vgpr108_vgpr109
                                        ; implicit-def: $vgpr116_vgpr117
                                        ; implicit-def: $vgpr120_vgpr121
                                        ; implicit-def: $vgpr144_vgpr145
                                        ; implicit-def: $vgpr112_vgpr113
                                        ; implicit-def: $vgpr16_vgpr17
                                        ; implicit-def: $vgpr12_vgpr13
                                        ; implicit-def: $vgpr4_vgpr5
                                        ; implicit-def: $vgpr0_vgpr1
	s_and_saveexec_b32 s2, vcc_lo
	s_cbranch_execz .LBB0_5
; %bb.4:
	ds_load_b128 v[8:11], v224 offset:272
	ds_load_b128 v[20:23], v224 offset:672
	;; [unrolled: 1-line block ×17, first 2 shown]
.LBB0_5:
	s_or_b32 exec_lo, exec_lo, s2
	s_waitcnt lgkmcnt(0)
	v_add_f64 v[34:35], v[70:71], v[26:27]
	v_add_f64 v[32:33], v[68:69], v[24:25]
	v_add_f64 v[174:175], v[170:171], -v[166:167]
	v_add_f64 v[178:179], v[158:159], -v[162:163]
	;; [unrolled: 1-line block ×4, first 2 shown]
	s_mov_b32 s40, 0x2a9d6da3
	s_mov_b32 s41, 0xbfe58eea
	v_add_f64 v[36:37], v[26:27], v[102:103]
	v_add_f64 v[38:39], v[24:25], -v[100:101]
	s_mov_b32 s36, 0x5d8e7cdc
	s_mov_b32 s42, 0x7c9e640b
	;; [unrolled: 1-line block ×16, first 2 shown]
	v_add_f64 v[186:187], v[98:99], -v[126:127]
	s_mov_b32 s8, 0x370991
	s_mov_b32 s20, 0x2b2883cd
	;; [unrolled: 1-line block ×11, first 2 shown]
	v_add_f64 v[34:35], v[34:35], v[98:99]
	v_add_f64 v[32:33], v[32:33], v[96:97]
	s_mov_b32 s19, 0xbfe348c8
	s_mov_b32 s15, 0xbfeb34fa
	;; [unrolled: 1-line block ×3, first 2 shown]
	v_add_f64 v[180:181], v[128:129], -v[140:141]
	v_add_f64 v[182:183], v[130:131], -v[142:143]
	;; [unrolled: 1-line block ×3, first 2 shown]
	s_mov_b32 s53, 0x3fe0d888
	v_mul_f64 v[64:65], v[38:39], s[38:39]
	v_mul_f64 v[58:59], v[38:39], s[40:41]
	;; [unrolled: 1-line block ×4, first 2 shown]
	s_mov_b32 s52, s30
	s_mov_b32 s49, 0x3feec746
	;; [unrolled: 1-line block ×15, first 2 shown]
	v_add_f64 v[226:227], v[22:23], -v[2:3]
	v_add_f64 v[228:229], v[74:75], -v[6:7]
	v_add_f64 v[250:251], v[20:21], v[0:1]
	v_add_f64 v[230:231], v[20:21], -v[0:1]
	v_add_f64 v[232:233], v[72:73], -v[4:5]
	;; [unrolled: 1-line block ×7, first 2 shown]
	v_add_f64 v[34:35], v[34:35], v[106:107]
	v_add_f64 v[32:33], v[32:33], v[104:105]
	v_add_f64 v[244:245], v[84:85], -v[112:113]
	v_add_f64 v[246:247], v[90:91], -v[146:147]
	;; [unrolled: 1-line block ×5, first 2 shown]
	v_fma_f64 v[188:189], v[36:37], s[24:25], v[64:65]
	v_fma_f64 v[64:65], v[36:37], s[24:25], -v[64:65]
	v_fma_f64 v[190:191], v[36:37], s[22:23], v[66:67]
	v_fma_f64 v[192:193], v[36:37], s[22:23], -v[66:67]
	v_add_f64 v[34:35], v[34:35], v[130:131]
	v_add_f64 v[32:33], v[32:33], v[128:129]
	;; [unrolled: 1-line block ×3, first 2 shown]
	s_delay_alu instid0(VALU_DEP_3) | instskip(NEXT) | instid1(VALU_DEP_3)
	v_add_f64 v[34:35], v[34:35], v[138:139]
	v_add_f64 v[32:33], v[32:33], v[136:137]
	s_delay_alu instid0(VALU_DEP_2) | instskip(NEXT) | instid1(VALU_DEP_2)
	v_add_f64 v[34:35], v[34:35], v[150:151]
	v_add_f64 v[32:33], v[32:33], v[148:149]
	s_delay_alu instid0(VALU_DEP_2) | instskip(NEXT) | instid1(VALU_DEP_2)
	;; [unrolled: 3-line block ×3, first 2 shown]
	v_add_f64 v[34:35], v[34:35], v[170:171]
	v_add_f64 v[32:33], v[32:33], v[168:169]
	;; [unrolled: 1-line block ×4, first 2 shown]
	s_delay_alu instid0(VALU_DEP_4) | instskip(NEXT) | instid1(VALU_DEP_4)
	v_add_f64 v[34:35], v[34:35], v[166:167]
	v_add_f64 v[32:33], v[32:33], v[164:165]
	;; [unrolled: 1-line block ×8, first 2 shown]
	v_add_f64 v[162:163], v[150:151], -v[154:155]
	v_add_f64 v[150:151], v[138:139], v[30:31]
	v_add_f64 v[160:161], v[148:149], -v[152:153]
	v_add_f64 v[148:149], v[136:137], v[28:29]
	v_add_f64 v[34:35], v[34:35], v[154:155]
	;; [unrolled: 1-line block ×3, first 2 shown]
	v_add_f64 v[154:155], v[138:139], -v[30:31]
	v_add_f64 v[152:153], v[136:137], -v[28:29]
	v_add_f64 v[136:137], v[128:129], v[140:141]
	v_add_f64 v[138:139], v[130:131], v[142:143]
	;; [unrolled: 1-line block ×6, first 2 shown]
	v_add_f64 v[32:33], v[26:27], -v[102:103]
	v_add_f64 v[34:35], v[24:25], v[100:101]
	s_delay_alu instid0(VALU_DEP_4) | instskip(NEXT) | instid1(VALU_DEP_4)
	v_add_f64 v[30:31], v[30:31], v[142:143]
	v_add_f64 v[28:29], v[28:29], v[140:141]
	s_delay_alu instid0(VALU_DEP_4)
	v_mul_f64 v[40:41], v[32:33], s[42:43]
	v_mul_f64 v[42:43], v[32:33], s[38:39]
	;; [unrolled: 1-line block ×5, first 2 shown]
	v_add_f64 v[140:141], v[104:105], -v[132:133]
	v_add_f64 v[142:143], v[106:107], -v[134:135]
	v_fma_f64 v[106:107], v[36:37], s[16:17], v[58:59]
	v_fma_f64 v[58:59], v[36:37], s[16:17], -v[58:59]
	v_add_f64 v[30:31], v[30:31], v[134:135]
	v_add_f64 v[28:29], v[28:29], v[132:133]
	v_add_f64 v[132:133], v[96:97], v[124:125]
	v_add_f64 v[134:135], v[98:99], v[126:127]
	v_fma_f64 v[54:55], v[34:35], s[20:21], -v[40:41]
	v_fma_f64 v[40:41], v[34:35], s[20:21], v[40:41]
	v_fma_f64 v[56:57], v[34:35], s[24:25], -v[42:43]
	v_fma_f64 v[42:43], v[34:35], s[24:25], v[42:43]
	;; [unrolled: 2-line block ×4, first 2 shown]
	v_mul_f64 v[98:99], v[38:39], s[28:29]
	v_add_f64 v[212:213], v[70:71], v[58:59]
	v_add_f64 v[208:209], v[70:71], v[106:107]
	;; [unrolled: 1-line block ×4, first 2 shown]
	v_fma_f64 v[126:127], v[36:37], s[20:21], v[62:63]
	v_fma_f64 v[62:63], v[36:37], s[20:21], -v[62:63]
	v_add_f64 v[54:55], v[68:69], v[54:55]
	v_add_f64 v[216:217], v[68:69], v[40:41]
	;; [unrolled: 1-line block ×8, first 2 shown]
	v_fma_f64 v[196:197], v[36:37], s[18:19], v[98:99]
	v_fma_f64 v[198:199], v[36:37], s[18:19], -v[98:99]
	v_add_f64 v[98:99], v[68:69], v[46:47]
	v_add_f64 v[60:61], v[70:71], v[192:193]
	;; [unrolled: 1-line block ×3, first 2 shown]
	v_mul_f64 v[30:31], v[32:33], s[40:41]
	v_add_f64 v[24:25], v[28:29], v[100:101]
	v_mul_f64 v[28:29], v[32:33], s[36:37]
	v_mul_f64 v[32:33], v[32:33], s[34:35]
	v_fma_f64 v[100:101], v[34:35], s[14:15], -v[48:49]
	v_fma_f64 v[48:49], v[34:35], s[14:15], v[48:49]
	v_mul_f64 v[102:103], v[38:39], s[30:31]
	v_add_f64 v[218:219], v[70:71], v[62:63]
	v_add_f64 v[62:63], v[68:69], v[44:45]
	;; [unrolled: 1-line block ×5, first 2 shown]
	v_fma_f64 v[52:53], v[34:35], s[16:17], -v[30:31]
	v_fma_f64 v[30:31], v[34:35], s[16:17], v[30:31]
	v_fma_f64 v[50:51], v[34:35], s[8:9], -v[28:29]
	v_fma_f64 v[28:29], v[34:35], s[8:9], v[28:29]
	;; [unrolled: 2-line block ×3, first 2 shown]
	v_mul_f64 v[34:35], v[38:39], s[36:37]
	v_mul_f64 v[38:39], v[38:39], s[34:35]
	v_fma_f64 v[200:201], v[36:37], s[14:15], v[102:103]
	v_fma_f64 v[202:203], v[36:37], s[14:15], -v[102:103]
	v_add_f64 v[106:107], v[68:69], v[48:49]
	v_add_f64 v[102:103], v[68:69], v[100:101]
	;; [unrolled: 1-line block ×4, first 2 shown]
	v_mul_f64 v[30:31], v[186:187], s[40:41]
	v_add_f64 v[28:29], v[68:69], v[28:29]
	v_add_f64 v[126:127], v[68:69], v[124:125]
	;; [unrolled: 1-line block ×3, first 2 shown]
	v_fma_f64 v[104:105], v[36:37], s[8:9], v[34:35]
	v_fma_f64 v[34:35], v[36:37], s[8:9], -v[34:35]
	v_fma_f64 v[204:205], v[36:37], s[2:3], v[38:39]
	v_fma_f64 v[36:37], v[36:37], s[2:3], -v[38:39]
	v_add_f64 v[38:39], v[68:69], v[50:51]
	v_add_f64 v[100:101], v[70:71], v[200:201]
	v_fma_f64 v[32:33], v[132:133], s[16:17], -v[30:31]
	v_fma_f64 v[30:31], v[132:133], s[16:17], v[30:31]
	v_add_f64 v[50:51], v[70:71], v[104:105]
	v_add_f64 v[206:207], v[70:71], v[34:35]
	;; [unrolled: 1-line block ×4, first 2 shown]
	v_mul_f64 v[36:37], v[184:185], s[40:41]
	v_add_f64 v[124:125], v[70:71], v[204:205]
	v_mul_f64 v[204:205], v[174:175], s[46:47]
	v_add_f64 v[32:33], v[32:33], v[38:39]
	;; [unrolled: 2-line block ×3, first 2 shown]
	v_fma_f64 v[34:35], v[134:135], s[16:17], v[36:37]
	v_fma_f64 v[30:31], v[134:135], s[16:17], -v[36:37]
	s_delay_alu instid0(VALU_DEP_4) | instskip(SKIP_1) | instid1(VALU_DEP_4)
	v_fma_f64 v[40:41], v[128:129], s[20:21], -v[38:39]
	v_fma_f64 v[36:37], v[128:129], s[20:21], v[38:39]
	v_add_f64 v[34:35], v[34:35], v[50:51]
	s_delay_alu instid0(VALU_DEP_4) | instskip(NEXT) | instid1(VALU_DEP_4)
	v_add_f64 v[30:31], v[30:31], v[206:207]
	v_add_f64 v[32:33], v[40:41], v[32:33]
	v_mul_f64 v[40:41], v[140:141], s[42:43]
	v_add_f64 v[28:29], v[36:37], v[28:29]
	s_delay_alu instid0(VALU_DEP_2) | instskip(SKIP_1) | instid1(VALU_DEP_2)
	v_fma_f64 v[42:43], v[130:131], s[20:21], v[40:41]
	v_fma_f64 v[36:37], v[130:131], s[20:21], -v[40:41]
	v_add_f64 v[34:35], v[42:43], v[34:35]
	v_mul_f64 v[42:43], v[182:183], s[38:39]
	s_delay_alu instid0(VALU_DEP_3) | instskip(NEXT) | instid1(VALU_DEP_2)
	v_add_f64 v[30:31], v[36:37], v[30:31]
	v_fma_f64 v[44:45], v[136:137], s[24:25], -v[42:43]
	v_fma_f64 v[36:37], v[136:137], s[24:25], v[42:43]
	s_delay_alu instid0(VALU_DEP_2) | instskip(SKIP_1) | instid1(VALU_DEP_3)
	v_add_f64 v[32:33], v[44:45], v[32:33]
	v_mul_f64 v[44:45], v[180:181], s[38:39]
	v_add_f64 v[28:29], v[36:37], v[28:29]
	s_delay_alu instid0(VALU_DEP_2) | instskip(SKIP_2) | instid1(VALU_DEP_3)
	v_fma_f64 v[46:47], v[138:139], s[24:25], v[44:45]
	v_fma_f64 v[36:37], v[138:139], s[24:25], -v[44:45]
	v_mul_f64 v[44:45], v[184:185], s[38:39]
	v_add_f64 v[34:35], v[46:47], v[34:35]
	v_mul_f64 v[46:47], v[154:155], s[26:27]
	s_delay_alu instid0(VALU_DEP_4) | instskip(NEXT) | instid1(VALU_DEP_4)
	v_add_f64 v[30:31], v[36:37], v[30:31]
	v_fma_f64 v[40:41], v[134:135], s[24:25], v[44:45]
	v_fma_f64 v[44:45], v[134:135], s[24:25], -v[44:45]
	s_delay_alu instid0(VALU_DEP_4)
	v_fma_f64 v[48:49], v[148:149], s[22:23], -v[46:47]
	v_fma_f64 v[36:37], v[148:149], s[22:23], v[46:47]
	v_mul_f64 v[46:47], v[142:143], s[28:29]
	v_add_f64 v[40:41], v[40:41], v[208:209]
	v_add_f64 v[44:45], v[44:45], v[212:213]
	v_mul_f64 v[208:209], v[176:177], s[38:39]
	v_add_f64 v[32:33], v[48:49], v[32:33]
	v_mul_f64 v[48:49], v[152:153], s[26:27]
	v_add_f64 v[28:29], v[36:37], v[28:29]
	v_fma_f64 v[42:43], v[128:129], s[18:19], -v[46:47]
	v_fma_f64 v[46:47], v[128:129], s[18:19], v[46:47]
	s_delay_alu instid0(VALU_DEP_4) | instskip(SKIP_2) | instid1(VALU_DEP_3)
	v_fma_f64 v[50:51], v[150:151], s[22:23], v[48:49]
	v_fma_f64 v[36:37], v[150:151], s[22:23], -v[48:49]
	v_mul_f64 v[48:49], v[140:141], s[28:29]
	v_add_f64 v[34:35], v[50:51], v[34:35]
	v_mul_f64 v[50:51], v[162:163], s[28:29]
	s_delay_alu instid0(VALU_DEP_4) | instskip(NEXT) | instid1(VALU_DEP_2)
	v_add_f64 v[30:31], v[36:37], v[30:31]
	v_fma_f64 v[68:69], v[156:157], s[18:19], -v[50:51]
	v_fma_f64 v[36:37], v[156:157], s[18:19], v[50:51]
	v_mul_f64 v[50:51], v[182:183], s[34:35]
	s_delay_alu instid0(VALU_DEP_3) | instskip(SKIP_1) | instid1(VALU_DEP_4)
	v_add_f64 v[32:33], v[68:69], v[32:33]
	v_mul_f64 v[68:69], v[160:161], s[28:29]
	v_add_f64 v[28:29], v[36:37], v[28:29]
	s_delay_alu instid0(VALU_DEP_2) | instskip(SKIP_2) | instid1(VALU_DEP_3)
	v_fma_f64 v[70:71], v[158:159], s[18:19], v[68:69]
	v_fma_f64 v[36:37], v[158:159], s[18:19], -v[68:69]
	v_mul_f64 v[68:69], v[154:155], s[52:53]
	v_add_f64 v[34:35], v[70:71], v[34:35]
	v_mul_f64 v[70:71], v[178:179], s[30:31]
	s_delay_alu instid0(VALU_DEP_4) | instskip(NEXT) | instid1(VALU_DEP_2)
	v_add_f64 v[30:31], v[36:37], v[30:31]
	v_fma_f64 v[196:197], v[164:165], s[14:15], -v[70:71]
	v_fma_f64 v[36:37], v[164:165], s[14:15], v[70:71]
	v_mul_f64 v[70:71], v[152:153], s[52:53]
	s_delay_alu instid0(VALU_DEP_3) | instskip(SKIP_1) | instid1(VALU_DEP_4)
	v_add_f64 v[32:33], v[196:197], v[32:33]
	v_mul_f64 v[196:197], v[176:177], s[30:31]
	v_add_f64 v[28:29], v[36:37], v[28:29]
	s_delay_alu instid0(VALU_DEP_2) | instskip(SKIP_2) | instid1(VALU_DEP_3)
	v_fma_f64 v[198:199], v[166:167], s[14:15], v[196:197]
	v_fma_f64 v[36:37], v[166:167], s[14:15], -v[196:197]
	v_mul_f64 v[196:197], v[162:163], s[48:49]
	v_add_f64 v[34:35], v[198:199], v[34:35]
	v_mul_f64 v[198:199], v[174:175], s[34:35]
	s_delay_alu instid0(VALU_DEP_4) | instskip(NEXT) | instid1(VALU_DEP_2)
	v_add_f64 v[30:31], v[36:37], v[30:31]
	v_fma_f64 v[200:201], v[168:169], s[2:3], -v[198:199]
	v_fma_f64 v[36:37], v[168:169], s[2:3], v[198:199]
	v_mul_f64 v[198:199], v[160:161], s[48:49]
	s_delay_alu instid0(VALU_DEP_3) | instskip(SKIP_1) | instid1(VALU_DEP_4)
	v_add_f64 v[32:33], v[200:201], v[32:33]
	v_mul_f64 v[200:201], v[172:173], s[34:35]
	v_add_f64 v[28:29], v[36:37], v[28:29]
	v_mul_f64 v[36:37], v[186:187], s[38:39]
	s_delay_alu instid0(VALU_DEP_3) | instskip(SKIP_2) | instid1(VALU_DEP_3)
	v_fma_f64 v[38:39], v[170:171], s[2:3], -v[200:201]
	v_fma_f64 v[202:203], v[170:171], s[2:3], v[200:201]
	v_mul_f64 v[200:201], v[178:179], s[44:45]
	v_add_f64 v[30:31], v[38:39], v[30:31]
	v_fma_f64 v[38:39], v[132:133], s[24:25], -v[36:37]
	v_fma_f64 v[36:37], v[132:133], s[24:25], v[36:37]
	v_add_f64 v[34:35], v[202:203], v[34:35]
	v_mul_f64 v[202:203], v[176:177], s[44:45]
	s_delay_alu instid0(VALU_DEP_4) | instskip(SKIP_3) | instid1(VALU_DEP_4)
	v_add_f64 v[38:39], v[38:39], v[52:53]
	v_mul_f64 v[52:53], v[180:181], s[34:35]
	v_add_f64 v[36:37], v[36:37], v[210:211]
	v_mul_f64 v[210:211], v[174:175], s[30:31]
	v_add_f64 v[38:39], v[42:43], v[38:39]
	v_fma_f64 v[42:43], v[130:131], s[18:19], v[48:49]
	s_delay_alu instid0(VALU_DEP_4) | instskip(SKIP_1) | instid1(VALU_DEP_3)
	v_add_f64 v[36:37], v[46:47], v[36:37]
	v_fma_f64 v[46:47], v[130:131], s[18:19], -v[48:49]
	v_add_f64 v[40:41], v[42:43], v[40:41]
	v_fma_f64 v[42:43], v[136:137], s[2:3], -v[50:51]
	s_delay_alu instid0(VALU_DEP_3) | instskip(SKIP_1) | instid1(VALU_DEP_3)
	v_add_f64 v[44:45], v[46:47], v[44:45]
	v_fma_f64 v[46:47], v[136:137], s[2:3], v[50:51]
	v_add_f64 v[38:39], v[42:43], v[38:39]
	v_fma_f64 v[42:43], v[138:139], s[2:3], v[52:53]
	s_delay_alu instid0(VALU_DEP_3) | instskip(SKIP_2) | instid1(VALU_DEP_4)
	v_add_f64 v[36:37], v[46:47], v[36:37]
	v_fma_f64 v[46:47], v[138:139], s[2:3], -v[52:53]
	v_mul_f64 v[52:53], v[184:185], s[28:29]
	v_add_f64 v[40:41], v[42:43], v[40:41]
	v_fma_f64 v[42:43], v[148:149], s[14:15], -v[68:69]
	s_delay_alu instid0(VALU_DEP_4)
	v_add_f64 v[44:45], v[46:47], v[44:45]
	v_fma_f64 v[46:47], v[148:149], s[14:15], v[68:69]
	v_fma_f64 v[48:49], v[134:135], s[18:19], v[52:53]
	v_mul_f64 v[68:69], v[140:141], s[58:59]
	v_fma_f64 v[52:53], v[134:135], s[18:19], -v[52:53]
	v_add_f64 v[38:39], v[42:43], v[38:39]
	v_fma_f64 v[42:43], v[150:151], s[14:15], v[70:71]
	v_add_f64 v[36:37], v[46:47], v[36:37]
	v_fma_f64 v[46:47], v[150:151], s[14:15], -v[70:71]
	v_add_f64 v[48:49], v[48:49], v[214:215]
	v_mul_f64 v[70:71], v[182:183], s[48:49]
	v_add_f64 v[52:53], v[52:53], v[218:219]
	v_add_f64 v[40:41], v[42:43], v[40:41]
	v_fma_f64 v[42:43], v[156:157], s[22:23], -v[196:197]
	v_add_f64 v[44:45], v[46:47], v[44:45]
	v_fma_f64 v[46:47], v[156:157], s[22:23], v[196:197]
	v_mul_f64 v[196:197], v[180:181], s[48:49]
	s_delay_alu instid0(VALU_DEP_4) | instskip(SKIP_1) | instid1(VALU_DEP_4)
	v_add_f64 v[38:39], v[42:43], v[38:39]
	v_fma_f64 v[42:43], v[158:159], s[22:23], v[198:199]
	v_add_f64 v[36:37], v[46:47], v[36:37]
	v_fma_f64 v[46:47], v[158:159], s[22:23], -v[198:199]
	v_mul_f64 v[198:199], v[154:155], s[50:51]
	s_delay_alu instid0(VALU_DEP_4) | instskip(SKIP_1) | instid1(VALU_DEP_4)
	v_add_f64 v[40:41], v[42:43], v[40:41]
	v_fma_f64 v[42:43], v[164:165], s[20:21], -v[200:201]
	v_add_f64 v[44:45], v[46:47], v[44:45]
	v_fma_f64 v[46:47], v[164:165], s[20:21], v[200:201]
	v_mul_f64 v[200:201], v[152:153], s[50:51]
	s_delay_alu instid0(VALU_DEP_4) | instskip(SKIP_1) | instid1(VALU_DEP_4)
	v_add_f64 v[38:39], v[42:43], v[38:39]
	v_fma_f64 v[42:43], v[166:167], s[20:21], v[202:203]
	v_add_f64 v[36:37], v[46:47], v[36:37]
	v_fma_f64 v[46:47], v[166:167], s[20:21], -v[202:203]
	v_mul_f64 v[202:203], v[162:163], s[36:37]
	s_delay_alu instid0(VALU_DEP_4) | instskip(SKIP_1) | instid1(VALU_DEP_4)
	v_add_f64 v[42:43], v[42:43], v[40:41]
	v_fma_f64 v[40:41], v[168:169], s[8:9], -v[204:205]
	v_add_f64 v[44:45], v[46:47], v[44:45]
	v_fma_f64 v[46:47], v[168:169], s[8:9], v[204:205]
	v_mul_f64 v[204:205], v[160:161], s[36:37]
	s_delay_alu instid0(VALU_DEP_4) | instskip(SKIP_1) | instid1(VALU_DEP_4)
	v_add_f64 v[40:41], v[40:41], v[38:39]
	v_mul_f64 v[38:39], v[172:173], s[46:47]
	v_add_f64 v[36:37], v[46:47], v[36:37]
	s_delay_alu instid0(VALU_DEP_2) | instskip(SKIP_1) | instid1(VALU_DEP_2)
	v_fma_f64 v[206:207], v[170:171], s[8:9], v[38:39]
	v_fma_f64 v[38:39], v[170:171], s[8:9], -v[38:39]
	v_add_f64 v[42:43], v[206:207], v[42:43]
	s_delay_alu instid0(VALU_DEP_2) | instskip(SKIP_2) | instid1(VALU_DEP_2)
	v_add_f64 v[38:39], v[38:39], v[44:45]
	v_mul_f64 v[44:45], v[186:187], s[28:29]
	v_mul_f64 v[206:207], v[178:179], s[38:39]
	v_fma_f64 v[46:47], v[132:133], s[18:19], -v[44:45]
	v_fma_f64 v[44:45], v[132:133], s[18:19], v[44:45]
	s_delay_alu instid0(VALU_DEP_2) | instskip(SKIP_1) | instid1(VALU_DEP_3)
	v_add_f64 v[46:47], v[46:47], v[54:55]
	v_mul_f64 v[54:55], v[142:143], s[58:59]
	v_add_f64 v[44:45], v[44:45], v[216:217]
	s_delay_alu instid0(VALU_DEP_2) | instskip(SKIP_1) | instid1(VALU_DEP_2)
	v_fma_f64 v[50:51], v[128:129], s[2:3], -v[54:55]
	v_fma_f64 v[54:55], v[128:129], s[2:3], v[54:55]
	v_add_f64 v[46:47], v[50:51], v[46:47]
	v_fma_f64 v[50:51], v[130:131], s[2:3], v[68:69]
	s_delay_alu instid0(VALU_DEP_3) | instskip(SKIP_2) | instid1(VALU_DEP_4)
	v_add_f64 v[44:45], v[54:55], v[44:45]
	v_fma_f64 v[54:55], v[130:131], s[2:3], -v[68:69]
	v_mul_f64 v[68:69], v[186:187], s[34:35]
	v_add_f64 v[48:49], v[50:51], v[48:49]
	v_fma_f64 v[50:51], v[136:137], s[22:23], -v[70:71]
	s_delay_alu instid0(VALU_DEP_4) | instskip(SKIP_2) | instid1(VALU_DEP_4)
	v_add_f64 v[52:53], v[54:55], v[52:53]
	v_fma_f64 v[54:55], v[136:137], s[22:23], v[70:71]
	v_mul_f64 v[70:71], v[184:185], s[34:35]
	v_add_f64 v[46:47], v[50:51], v[46:47]
	v_fma_f64 v[50:51], v[138:139], s[22:23], v[196:197]
	s_delay_alu instid0(VALU_DEP_4) | instskip(SKIP_2) | instid1(VALU_DEP_4)
	v_add_f64 v[44:45], v[54:55], v[44:45]
	v_fma_f64 v[54:55], v[138:139], s[22:23], -v[196:197]
	v_mul_f64 v[196:197], v[142:143], s[48:49]
	v_add_f64 v[48:49], v[50:51], v[48:49]
	v_fma_f64 v[50:51], v[148:149], s[16:17], -v[198:199]
	s_delay_alu instid0(VALU_DEP_4) | instskip(SKIP_2) | instid1(VALU_DEP_4)
	v_add_f64 v[52:53], v[54:55], v[52:53]
	v_fma_f64 v[54:55], v[148:149], s[16:17], v[198:199]
	v_fma_f64 v[198:199], v[128:129], s[22:23], -v[196:197]
	v_add_f64 v[46:47], v[50:51], v[46:47]
	v_fma_f64 v[50:51], v[150:151], s[16:17], v[200:201]
	s_delay_alu instid0(VALU_DEP_4) | instskip(SKIP_1) | instid1(VALU_DEP_3)
	v_add_f64 v[44:45], v[54:55], v[44:45]
	v_fma_f64 v[54:55], v[150:151], s[16:17], -v[200:201]
	v_add_f64 v[48:49], v[50:51], v[48:49]
	v_fma_f64 v[50:51], v[156:157], s[8:9], -v[202:203]
	s_delay_alu instid0(VALU_DEP_3) | instskip(SKIP_1) | instid1(VALU_DEP_3)
	v_add_f64 v[52:53], v[54:55], v[52:53]
	v_fma_f64 v[54:55], v[156:157], s[8:9], v[202:203]
	v_add_f64 v[46:47], v[50:51], v[46:47]
	v_fma_f64 v[50:51], v[158:159], s[8:9], v[204:205]
	s_delay_alu instid0(VALU_DEP_3) | instskip(SKIP_1) | instid1(VALU_DEP_3)
	v_add_f64 v[44:45], v[54:55], v[44:45]
	v_fma_f64 v[54:55], v[158:159], s[8:9], -v[204:205]
	v_add_f64 v[48:49], v[50:51], v[48:49]
	v_fma_f64 v[50:51], v[164:165], s[24:25], -v[206:207]
	s_delay_alu instid0(VALU_DEP_3) | instskip(SKIP_1) | instid1(VALU_DEP_3)
	v_add_f64 v[52:53], v[54:55], v[52:53]
	v_fma_f64 v[54:55], v[164:165], s[24:25], v[206:207]
	v_add_f64 v[46:47], v[50:51], v[46:47]
	v_fma_f64 v[50:51], v[166:167], s[24:25], v[208:209]
	s_delay_alu instid0(VALU_DEP_3) | instskip(SKIP_1) | instid1(VALU_DEP_3)
	v_add_f64 v[44:45], v[54:55], v[44:45]
	v_fma_f64 v[54:55], v[166:167], s[24:25], -v[208:209]
	v_add_f64 v[50:51], v[50:51], v[48:49]
	v_fma_f64 v[48:49], v[168:169], s[14:15], -v[210:211]
	s_delay_alu instid0(VALU_DEP_3) | instskip(SKIP_1) | instid1(VALU_DEP_3)
	v_add_f64 v[52:53], v[54:55], v[52:53]
	v_fma_f64 v[54:55], v[168:169], s[14:15], v[210:211]
	v_add_f64 v[48:49], v[48:49], v[46:47]
	v_mul_f64 v[46:47], v[172:173], s[30:31]
	s_delay_alu instid0(VALU_DEP_3) | instskip(SKIP_1) | instid1(VALU_DEP_3)
	v_add_f64 v[44:45], v[54:55], v[44:45]
	v_fma_f64 v[54:55], v[134:135], s[2:3], v[70:71]
	v_fma_f64 v[212:213], v[170:171], s[14:15], v[46:47]
	v_fma_f64 v[46:47], v[170:171], s[14:15], -v[46:47]
	s_delay_alu instid0(VALU_DEP_3) | instskip(SKIP_1) | instid1(VALU_DEP_4)
	v_add_f64 v[54:55], v[54:55], v[222:223]
	v_mul_f64 v[222:223], v[230:231], s[30:31]
	v_add_f64 v[50:51], v[212:213], v[50:51]
	s_delay_alu instid0(VALU_DEP_4) | instskip(SKIP_2) | instid1(VALU_DEP_2)
	v_add_f64 v[46:47], v[46:47], v[52:53]
	v_fma_f64 v[52:53], v[132:133], s[2:3], -v[68:69]
	v_fma_f64 v[68:69], v[132:133], s[2:3], v[68:69]
	v_add_f64 v[52:53], v[52:53], v[220:221]
	s_delay_alu instid0(VALU_DEP_2) | instskip(SKIP_1) | instid1(VALU_DEP_3)
	v_add_f64 v[58:59], v[68:69], v[58:59]
	v_fma_f64 v[68:69], v[134:135], s[2:3], -v[70:71]
	v_add_f64 v[52:53], v[198:199], v[52:53]
	v_mul_f64 v[198:199], v[140:141], s[48:49]
	s_delay_alu instid0(VALU_DEP_3) | instskip(SKIP_1) | instid1(VALU_DEP_3)
	v_add_f64 v[56:57], v[68:69], v[56:57]
	v_fma_f64 v[68:69], v[128:129], s[22:23], v[196:197]
	v_fma_f64 v[200:201], v[130:131], s[22:23], v[198:199]
	s_delay_alu instid0(VALU_DEP_2) | instskip(SKIP_1) | instid1(VALU_DEP_3)
	v_add_f64 v[58:59], v[68:69], v[58:59]
	v_fma_f64 v[68:69], v[130:131], s[22:23], -v[198:199]
	v_add_f64 v[54:55], v[200:201], v[54:55]
	v_mul_f64 v[200:201], v[182:183], s[46:47]
	s_delay_alu instid0(VALU_DEP_3) | instskip(NEXT) | instid1(VALU_DEP_2)
	v_add_f64 v[56:57], v[68:69], v[56:57]
	v_fma_f64 v[202:203], v[136:137], s[8:9], -v[200:201]
	v_fma_f64 v[68:69], v[136:137], s[8:9], v[200:201]
	s_delay_alu instid0(VALU_DEP_2) | instskip(SKIP_1) | instid1(VALU_DEP_3)
	v_add_f64 v[52:53], v[202:203], v[52:53]
	v_mul_f64 v[202:203], v[180:181], s[46:47]
	v_add_f64 v[58:59], v[68:69], v[58:59]
	s_delay_alu instid0(VALU_DEP_2) | instskip(SKIP_1) | instid1(VALU_DEP_2)
	v_fma_f64 v[204:205], v[138:139], s[8:9], v[202:203]
	v_fma_f64 v[68:69], v[138:139], s[8:9], -v[202:203]
	v_add_f64 v[54:55], v[204:205], v[54:55]
	v_mul_f64 v[204:205], v[154:155], s[42:43]
	s_delay_alu instid0(VALU_DEP_3) | instskip(NEXT) | instid1(VALU_DEP_2)
	v_add_f64 v[56:57], v[68:69], v[56:57]
	v_fma_f64 v[206:207], v[148:149], s[20:21], -v[204:205]
	v_fma_f64 v[68:69], v[148:149], s[20:21], v[204:205]
	s_delay_alu instid0(VALU_DEP_2) | instskip(SKIP_1) | instid1(VALU_DEP_3)
	v_add_f64 v[52:53], v[206:207], v[52:53]
	v_mul_f64 v[206:207], v[152:153], s[42:43]
	v_add_f64 v[58:59], v[68:69], v[58:59]
	s_delay_alu instid0(VALU_DEP_2) | instskip(SKIP_1) | instid1(VALU_DEP_2)
	v_fma_f64 v[208:209], v[150:151], s[20:21], v[206:207]
	;; [unrolled: 13-line block ×4, first 2 shown]
	v_fma_f64 v[68:69], v[166:167], s[18:19], -v[214:215]
	v_add_f64 v[54:55], v[216:217], v[54:55]
	v_mul_f64 v[216:217], v[174:175], s[50:51]
	s_delay_alu instid0(VALU_DEP_3) | instskip(NEXT) | instid1(VALU_DEP_2)
	v_add_f64 v[68:69], v[68:69], v[56:57]
	v_fma_f64 v[218:219], v[168:169], s[16:17], -v[216:217]
	v_fma_f64 v[56:57], v[168:169], s[16:17], v[216:217]
	s_delay_alu instid0(VALU_DEP_2) | instskip(SKIP_1) | instid1(VALU_DEP_3)
	v_add_f64 v[52:53], v[218:219], v[52:53]
	v_mul_f64 v[218:219], v[172:173], s[50:51]
	v_add_f64 v[56:57], v[56:57], v[58:59]
	s_delay_alu instid0(VALU_DEP_2) | instskip(SKIP_2) | instid1(VALU_DEP_3)
	v_fma_f64 v[70:71], v[170:171], s[16:17], -v[218:219]
	v_fma_f64 v[220:221], v[170:171], s[16:17], v[218:219]
	v_mul_f64 v[218:219], v[174:175], s[28:29]
	v_add_f64 v[58:59], v[70:71], v[68:69]
	v_mul_f64 v[68:69], v[186:187], s[52:53]
	s_delay_alu instid0(VALU_DEP_4) | instskip(SKIP_1) | instid1(VALU_DEP_3)
	v_add_f64 v[54:55], v[220:221], v[54:55]
	v_mul_f64 v[220:221], v[172:173], s[28:29]
	v_fma_f64 v[70:71], v[132:133], s[14:15], -v[68:69]
	v_fma_f64 v[68:69], v[132:133], s[14:15], v[68:69]
	s_delay_alu instid0(VALU_DEP_2) | instskip(SKIP_1) | instid1(VALU_DEP_3)
	v_add_f64 v[66:67], v[70:71], v[66:67]
	v_mul_f64 v[70:71], v[184:185], s[52:53]
	v_add_f64 v[62:63], v[68:69], v[62:63]
	s_delay_alu instid0(VALU_DEP_2) | instskip(SKIP_2) | instid1(VALU_DEP_3)
	v_fma_f64 v[196:197], v[134:135], s[14:15], v[70:71]
	v_fma_f64 v[68:69], v[134:135], s[14:15], -v[70:71]
	v_fma_f64 v[70:71], v[170:171], s[18:19], -v[220:221]
	v_add_f64 v[64:65], v[196:197], v[64:65]
	v_mul_f64 v[196:197], v[142:143], s[50:51]
	s_delay_alu instid0(VALU_DEP_4) | instskip(NEXT) | instid1(VALU_DEP_2)
	v_add_f64 v[60:61], v[68:69], v[60:61]
	v_fma_f64 v[198:199], v[128:129], s[16:17], -v[196:197]
	v_fma_f64 v[68:69], v[128:129], s[16:17], v[196:197]
	v_mul_f64 v[196:197], v[186:187], s[48:49]
	s_delay_alu instid0(VALU_DEP_3) | instskip(SKIP_1) | instid1(VALU_DEP_4)
	v_add_f64 v[66:67], v[198:199], v[66:67]
	v_mul_f64 v[198:199], v[140:141], s[50:51]
	v_add_f64 v[62:63], v[68:69], v[62:63]
	s_delay_alu instid0(VALU_DEP_2) | instskip(SKIP_1) | instid1(VALU_DEP_2)
	v_fma_f64 v[200:201], v[130:131], s[16:17], v[198:199]
	v_fma_f64 v[68:69], v[130:131], s[16:17], -v[198:199]
	v_add_f64 v[64:65], v[200:201], v[64:65]
	v_mul_f64 v[200:201], v[182:183], s[42:43]
	s_delay_alu instid0(VALU_DEP_3) | instskip(NEXT) | instid1(VALU_DEP_2)
	v_add_f64 v[60:61], v[68:69], v[60:61]
	v_fma_f64 v[202:203], v[136:137], s[20:21], -v[200:201]
	v_fma_f64 v[68:69], v[136:137], s[20:21], v[200:201]
	s_delay_alu instid0(VALU_DEP_2) | instskip(SKIP_1) | instid1(VALU_DEP_3)
	v_add_f64 v[66:67], v[202:203], v[66:67]
	v_mul_f64 v[202:203], v[180:181], s[42:43]
	v_add_f64 v[62:63], v[68:69], v[62:63]
	s_delay_alu instid0(VALU_DEP_2) | instskip(SKIP_1) | instid1(VALU_DEP_2)
	v_fma_f64 v[204:205], v[138:139], s[20:21], v[202:203]
	v_fma_f64 v[68:69], v[138:139], s[20:21], -v[202:203]
	v_add_f64 v[64:65], v[204:205], v[64:65]
	v_mul_f64 v[204:205], v[154:155], s[34:35]
	s_delay_alu instid0(VALU_DEP_3) | instskip(NEXT) | instid1(VALU_DEP_2)
	v_add_f64 v[60:61], v[68:69], v[60:61]
	v_fma_f64 v[206:207], v[148:149], s[2:3], -v[204:205]
	v_fma_f64 v[68:69], v[148:149], s[2:3], v[204:205]
	s_delay_alu instid0(VALU_DEP_2) | instskip(SKIP_1) | instid1(VALU_DEP_3)
	;; [unrolled: 13-line block ×4, first 2 shown]
	v_add_f64 v[66:67], v[214:215], v[66:67]
	v_mul_f64 v[214:215], v[176:177], s[36:37]
	v_add_f64 v[62:63], v[68:69], v[62:63]
	s_delay_alu instid0(VALU_DEP_2) | instskip(SKIP_1) | instid1(VALU_DEP_2)
	v_fma_f64 v[68:69], v[166:167], s[8:9], -v[214:215]
	v_fma_f64 v[216:217], v[166:167], s[8:9], v[214:215]
	v_add_f64 v[68:69], v[68:69], v[60:61]
	v_fma_f64 v[60:61], v[168:169], s[18:19], v[218:219]
	s_delay_alu instid0(VALU_DEP_3) | instskip(SKIP_1) | instid1(VALU_DEP_3)
	v_add_f64 v[216:217], v[216:217], v[64:65]
	v_fma_f64 v[64:65], v[168:169], s[18:19], -v[218:219]
	v_add_f64 v[60:61], v[60:61], v[62:63]
	v_add_f64 v[62:63], v[70:71], v[68:69]
	v_fma_f64 v[68:69], v[132:133], s[22:23], -v[196:197]
	v_fma_f64 v[196:197], v[132:133], s[22:23], v[196:197]
	v_add_f64 v[64:65], v[64:65], v[66:67]
	v_fma_f64 v[66:67], v[170:171], s[18:19], v[220:221]
	s_delay_alu instid0(VALU_DEP_4) | instskip(SKIP_2) | instid1(VALU_DEP_4)
	v_add_f64 v[68:69], v[68:69], v[194:195]
	v_mul_f64 v[194:195], v[184:185], s[48:49]
	v_add_f64 v[98:99], v[196:197], v[98:99]
	v_add_f64 v[66:67], v[66:67], v[216:217]
	s_delay_alu instid0(VALU_DEP_3) | instskip(SKIP_1) | instid1(VALU_DEP_2)
	v_fma_f64 v[70:71], v[134:135], s[22:23], v[194:195]
	v_fma_f64 v[194:195], v[134:135], s[22:23], -v[194:195]
	v_add_f64 v[70:71], v[70:71], v[192:193]
	v_mul_f64 v[192:193], v[142:143], s[36:37]
	s_delay_alu instid0(VALU_DEP_3) | instskip(NEXT) | instid1(VALU_DEP_2)
	v_add_f64 v[96:97], v[194:195], v[96:97]
	v_fma_f64 v[198:199], v[128:129], s[8:9], -v[192:193]
	v_fma_f64 v[192:193], v[128:129], s[8:9], v[192:193]
	s_delay_alu instid0(VALU_DEP_2) | instskip(SKIP_1) | instid1(VALU_DEP_3)
	v_add_f64 v[68:69], v[198:199], v[68:69]
	v_mul_f64 v[198:199], v[140:141], s[36:37]
	v_add_f64 v[98:99], v[192:193], v[98:99]
	s_delay_alu instid0(VALU_DEP_2) | instskip(SKIP_1) | instid1(VALU_DEP_2)
	v_fma_f64 v[200:201], v[130:131], s[8:9], v[198:199]
	v_fma_f64 v[192:193], v[130:131], s[8:9], -v[198:199]
	v_add_f64 v[70:71], v[200:201], v[70:71]
	v_mul_f64 v[200:201], v[182:183], s[30:31]
	s_delay_alu instid0(VALU_DEP_3) | instskip(NEXT) | instid1(VALU_DEP_2)
	v_add_f64 v[96:97], v[192:193], v[96:97]
	v_fma_f64 v[202:203], v[136:137], s[14:15], -v[200:201]
	v_fma_f64 v[192:193], v[136:137], s[14:15], v[200:201]
	s_delay_alu instid0(VALU_DEP_2) | instskip(SKIP_1) | instid1(VALU_DEP_3)
	v_add_f64 v[68:69], v[202:203], v[68:69]
	v_mul_f64 v[202:203], v[180:181], s[30:31]
	v_add_f64 v[98:99], v[192:193], v[98:99]
	s_delay_alu instid0(VALU_DEP_2) | instskip(SKIP_1) | instid1(VALU_DEP_2)
	;; [unrolled: 13-line block ×5, first 2 shown]
	v_fma_f64 v[216:217], v[166:167], s[2:3], v[214:215]
	v_fma_f64 v[192:193], v[166:167], s[2:3], -v[214:215]
	v_add_f64 v[70:71], v[216:217], v[70:71]
	v_mul_f64 v[216:217], v[174:175], s[44:45]
	s_delay_alu instid0(VALU_DEP_3) | instskip(NEXT) | instid1(VALU_DEP_2)
	v_add_f64 v[192:193], v[192:193], v[96:97]
	v_fma_f64 v[218:219], v[168:169], s[20:21], -v[216:217]
	v_fma_f64 v[96:97], v[168:169], s[20:21], v[216:217]
	s_delay_alu instid0(VALU_DEP_2) | instskip(SKIP_1) | instid1(VALU_DEP_3)
	v_add_f64 v[68:69], v[218:219], v[68:69]
	v_mul_f64 v[218:219], v[172:173], s[44:45]
	v_add_f64 v[96:97], v[96:97], v[98:99]
	s_delay_alu instid0(VALU_DEP_2) | instskip(SKIP_3) | instid1(VALU_DEP_4)
	v_fma_f64 v[194:195], v[170:171], s[20:21], -v[218:219]
	v_fma_f64 v[220:221], v[170:171], s[20:21], v[218:219]
	v_mul_f64 v[218:219], v[174:175], s[26:27]
	v_mul_f64 v[174:175], v[174:175], s[56:57]
	v_add_f64 v[98:99], v[194:195], v[192:193]
	v_mul_f64 v[192:193], v[186:187], s[44:45]
	v_add_f64 v[70:71], v[220:221], v[70:71]
	v_mul_f64 v[220:221], v[172:173], s[26:27]
	v_mul_f64 v[186:187], v[186:187], s[46:47]
	;; [unrolled: 1-line block ×3, first 2 shown]
	v_fma_f64 v[194:195], v[132:133], s[20:21], -v[192:193]
	v_fma_f64 v[192:193], v[132:133], s[20:21], v[192:193]
	s_delay_alu instid0(VALU_DEP_2) | instskip(SKIP_1) | instid1(VALU_DEP_3)
	v_add_f64 v[102:103], v[194:195], v[102:103]
	v_mul_f64 v[194:195], v[184:185], s[44:45]
	v_add_f64 v[106:107], v[192:193], v[106:107]
	v_mul_f64 v[184:185], v[184:185], s[46:47]
	s_delay_alu instid0(VALU_DEP_3) | instskip(SKIP_2) | instid1(VALU_DEP_3)
	v_fma_f64 v[196:197], v[134:135], s[20:21], v[194:195]
	v_fma_f64 v[192:193], v[134:135], s[20:21], -v[194:195]
	v_fma_f64 v[194:195], v[170:171], s[22:23], -v[220:221]
	v_add_f64 v[100:101], v[196:197], v[100:101]
	v_mul_f64 v[196:197], v[142:143], s[38:39]
	s_delay_alu instid0(VALU_DEP_4) | instskip(SKIP_1) | instid1(VALU_DEP_3)
	v_add_f64 v[104:105], v[192:193], v[104:105]
	v_mul_f64 v[142:143], v[142:143], s[30:31]
	v_fma_f64 v[198:199], v[128:129], s[24:25], -v[196:197]
	v_fma_f64 v[192:193], v[128:129], s[24:25], v[196:197]
	s_delay_alu instid0(VALU_DEP_2) | instskip(SKIP_1) | instid1(VALU_DEP_3)
	v_add_f64 v[102:103], v[198:199], v[102:103]
	v_mul_f64 v[198:199], v[140:141], s[38:39]
	v_add_f64 v[106:107], v[192:193], v[106:107]
	v_mul_f64 v[140:141], v[140:141], s[30:31]
	s_delay_alu instid0(VALU_DEP_3) | instskip(SKIP_2) | instid1(VALU_DEP_3)
	v_fma_f64 v[200:201], v[130:131], s[24:25], v[198:199]
	v_fma_f64 v[192:193], v[130:131], s[24:25], -v[198:199]
	v_add_f64 v[198:199], v[78:79], v[14:15]
	v_add_f64 v[100:101], v[200:201], v[100:101]
	v_mul_f64 v[200:201], v[182:183], s[54:55]
	s_delay_alu instid0(VALU_DEP_4) | instskip(SKIP_1) | instid1(VALU_DEP_3)
	v_add_f64 v[104:105], v[192:193], v[104:105]
	v_mul_f64 v[182:183], v[182:183], s[50:51]
	v_fma_f64 v[202:203], v[136:137], s[18:19], -v[200:201]
	v_fma_f64 v[192:193], v[136:137], s[18:19], v[200:201]
	s_delay_alu instid0(VALU_DEP_2) | instskip(SKIP_1) | instid1(VALU_DEP_3)
	v_add_f64 v[102:103], v[202:203], v[102:103]
	v_mul_f64 v[202:203], v[180:181], s[54:55]
	v_add_f64 v[106:107], v[192:193], v[106:107]
	v_mul_f64 v[180:181], v[180:181], s[50:51]
	s_delay_alu instid0(VALU_DEP_3) | instskip(SKIP_2) | instid1(VALU_DEP_3)
	v_fma_f64 v[204:205], v[138:139], s[18:19], v[202:203]
	v_fma_f64 v[192:193], v[138:139], s[18:19], -v[202:203]
	v_add_f64 v[202:203], v[86:87], v[114:115]
	;; [unrolled: 16-line block ×3, first 2 shown]
	v_add_f64 v[100:101], v[208:209], v[100:101]
	v_mul_f64 v[208:209], v[162:163], s[34:35]
	s_delay_alu instid0(VALU_DEP_4) | instskip(SKIP_1) | instid1(VALU_DEP_3)
	v_add_f64 v[104:105], v[192:193], v[104:105]
	v_mul_f64 v[162:163], v[162:163], s[44:45]
	v_fma_f64 v[210:211], v[156:157], s[2:3], -v[208:209]
	v_fma_f64 v[192:193], v[156:157], s[2:3], v[208:209]
	s_delay_alu instid0(VALU_DEP_2) | instskip(SKIP_1) | instid1(VALU_DEP_3)
	v_add_f64 v[102:103], v[210:211], v[102:103]
	v_mul_f64 v[210:211], v[160:161], s[34:35]
	v_add_f64 v[106:107], v[192:193], v[106:107]
	v_mul_f64 v[160:161], v[160:161], s[44:45]
	s_delay_alu instid0(VALU_DEP_3) | instskip(SKIP_1) | instid1(VALU_DEP_2)
	v_fma_f64 v[212:213], v[158:159], s[2:3], v[210:211]
	v_fma_f64 v[192:193], v[158:159], s[2:3], -v[210:211]
	v_add_f64 v[100:101], v[212:213], v[100:101]
	v_mul_f64 v[212:213], v[178:179], s[50:51]
	s_delay_alu instid0(VALU_DEP_3) | instskip(SKIP_1) | instid1(VALU_DEP_3)
	v_add_f64 v[104:105], v[192:193], v[104:105]
	v_mul_f64 v[178:179], v[178:179], s[26:27]
	v_fma_f64 v[214:215], v[164:165], s[16:17], -v[212:213]
	v_fma_f64 v[192:193], v[164:165], s[16:17], v[212:213]
	v_mul_f64 v[212:213], v[226:227], s[28:29]
	s_delay_alu instid0(VALU_DEP_3) | instskip(SKIP_1) | instid1(VALU_DEP_4)
	v_add_f64 v[102:103], v[214:215], v[102:103]
	v_mul_f64 v[214:215], v[176:177], s[50:51]
	v_add_f64 v[106:107], v[192:193], v[106:107]
	v_mul_f64 v[176:177], v[176:177], s[26:27]
	s_delay_alu instid0(VALU_DEP_3) | instskip(SKIP_1) | instid1(VALU_DEP_2)
	v_fma_f64 v[192:193], v[166:167], s[16:17], -v[214:215]
	v_fma_f64 v[216:217], v[166:167], s[16:17], v[214:215]
	v_add_f64 v[192:193], v[192:193], v[104:105]
	v_fma_f64 v[104:105], v[168:169], s[22:23], v[218:219]
	s_delay_alu instid0(VALU_DEP_3) | instskip(SKIP_1) | instid1(VALU_DEP_3)
	v_add_f64 v[216:217], v[216:217], v[100:101]
	v_fma_f64 v[100:101], v[168:169], s[22:23], -v[218:219]
	v_add_f64 v[104:105], v[104:105], v[106:107]
	v_add_f64 v[106:107], v[194:195], v[192:193]
	v_fma_f64 v[192:193], v[132:133], s[8:9], -v[186:187]
	v_fma_f64 v[132:133], v[132:133], s[8:9], v[186:187]
	v_add_f64 v[194:195], v[84:85], v[112:113]
	v_add_f64 v[186:187], v[90:91], v[146:147]
	;; [unrolled: 1-line block ×3, first 2 shown]
	v_fma_f64 v[102:103], v[170:171], s[22:23], v[220:221]
	v_mul_f64 v[220:221], v[226:227], s[30:31]
	v_add_f64 v[126:127], v[192:193], v[126:127]
	v_fma_f64 v[192:193], v[134:135], s[8:9], v[184:185]
	v_fma_f64 v[134:135], v[134:135], s[8:9], -v[184:185]
	v_add_f64 v[132:133], v[132:133], v[188:189]
	v_add_f64 v[102:103], v[102:103], v[216:217]
	v_mul_f64 v[216:217], v[230:231], s[28:29]
	v_add_f64 v[124:125], v[192:193], v[124:125]
	v_fma_f64 v[192:193], v[128:129], s[14:15], -v[142:143]
	v_fma_f64 v[128:129], v[128:129], s[14:15], v[142:143]
	v_add_f64 v[134:135], v[134:135], v[190:191]
	v_add_f64 v[190:191], v[80:81], v[16:17]
	v_mul_f64 v[142:143], v[232:233], s[38:39]
	v_add_f64 v[126:127], v[192:193], v[126:127]
	v_fma_f64 v[192:193], v[130:131], s[14:15], v[140:141]
	v_fma_f64 v[130:131], v[130:131], s[14:15], -v[140:141]
	v_add_f64 v[128:129], v[128:129], v[132:133]
	v_fma_f64 v[132:133], v[148:149], s[18:19], v[154:155]
	scratch_store_b64 off, v[142:143], off offset:840 ; 8-byte Folded Spill
	v_add_f64 v[124:125], v[192:193], v[124:125]
	v_fma_f64 v[192:193], v[136:137], s[16:17], -v[182:183]
	v_fma_f64 v[136:137], v[136:137], s[16:17], v[182:183]
	v_add_f64 v[130:131], v[130:131], v[134:135]
	v_fma_f64 v[134:135], v[150:151], s[18:19], -v[152:153]
	v_add_f64 v[182:183], v[76:77], v[12:13]
	v_add_f64 v[126:127], v[192:193], v[126:127]
	v_fma_f64 v[192:193], v[138:139], s[16:17], v[180:181]
	v_fma_f64 v[138:139], v[138:139], s[16:17], -v[180:181]
	v_add_f64 v[128:129], v[136:137], v[128:129]
	v_mul_f64 v[136:137], v[230:231], s[36:37]
	v_mul_f64 v[180:181], v[230:231], s[26:27]
	v_add_f64 v[124:125], v[192:193], v[124:125]
	v_fma_f64 v[192:193], v[148:149], s[18:19], -v[154:155]
	v_add_f64 v[130:131], v[138:139], v[130:131]
	v_add_f64 v[128:129], v[132:133], v[128:129]
	v_fma_f64 v[132:133], v[156:157], s[20:21], v[162:163]
	v_mul_f64 v[138:139], v[232:233], s[40:41]
	scratch_store_b64 off, v[136:137], off offset:1024 ; 8-byte Folded Spill
	v_add_f64 v[154:155], v[110:111], v[118:119]
	v_mul_f64 v[148:149], v[238:239], s[30:31]
	v_add_f64 v[126:127], v[192:193], v[126:127]
	v_fma_f64 v[192:193], v[150:151], s[18:19], v[152:153]
	v_add_f64 v[130:131], v[134:135], v[130:131]
	v_fma_f64 v[134:135], v[158:159], s[20:21], -v[160:161]
	v_add_f64 v[128:129], v[132:133], v[128:129]
	v_fma_f64 v[132:133], v[164:165], s[22:23], v[178:179]
	scratch_store_b64 off, v[138:139], off offset:552 ; 8-byte Folded Spill
	v_add_f64 v[150:151], v[108:109], v[116:117]
	v_add_f64 v[124:125], v[192:193], v[124:125]
	v_fma_f64 v[192:193], v[156:157], s[20:21], -v[162:163]
	v_add_f64 v[130:131], v[134:135], v[130:131]
	v_fma_f64 v[134:135], v[166:167], s[22:23], -v[176:177]
	v_add_f64 v[128:129], v[132:133], v[128:129]
	v_fma_f64 v[132:133], v[168:169], s[24:25], v[174:175]
	v_mul_f64 v[156:157], v[232:233], s[48:49]
	v_add_f64 v[126:127], v[192:193], v[126:127]
	v_fma_f64 v[192:193], v[158:159], s[20:21], v[160:161]
	v_add_f64 v[130:131], v[134:135], v[130:131]
	v_fma_f64 v[134:135], v[170:171], s[24:25], -v[172:173]
	v_add_f64 v[128:129], v[132:133], v[128:129]
	v_mul_f64 v[132:133], v[226:227], s[36:37]
	v_add_f64 v[158:159], v[92:93], v[120:121]
	v_add_f64 v[124:125], v[192:193], v[124:125]
	v_fma_f64 v[192:193], v[164:165], s[22:23], -v[178:179]
	v_add_f64 v[130:131], v[134:135], v[130:131]
	v_mul_f64 v[134:135], v[228:229], s[40:41]
	v_mul_f64 v[178:179], v[226:227], s[26:27]
	s_delay_alu instid0(VALU_DEP_4)
	v_add_f64 v[126:127], v[192:193], v[126:127]
	v_fma_f64 v[192:193], v[166:167], s[22:23], v[176:177]
	v_add_f64 v[166:167], v[72:73], v[4:5]
	s_clause 0x1
	scratch_store_b64 off, v[134:135], off offset:504
	scratch_store_b64 off, v[132:133], off offset:992
	v_fma_f64 v[132:133], v[250:251], s[8:9], v[132:133]
	v_add_f64 v[176:177], v[74:75], v[6:7]
	v_add_f64 v[192:193], v[192:193], v[124:125]
	v_fma_f64 v[134:135], v[166:167], s[16:17], v[134:135]
	v_fma_f64 v[124:125], v[168:169], s[24:25], -v[174:175]
	v_add_f64 v[168:169], v[94:95], v[122:123]
	v_add_f64 v[132:133], v[8:9], v[132:133]
	v_fma_f64 v[138:139], v[176:177], s[16:17], -v[138:139]
	v_fma_f64 v[142:143], v[176:177], s[24:25], -v[142:143]
	v_add_f64 v[124:125], v[124:125], v[126:127]
	v_fma_f64 v[126:127], v[170:171], s[24:25], v[172:173]
	v_add_f64 v[134:135], v[134:135], v[132:133]
	v_add_f64 v[132:133], v[22:23], v[2:3]
	;; [unrolled: 1-line block ×3, first 2 shown]
	v_fma_f64 v[170:171], v[190:191], s[14:15], v[148:149]
	v_add_f64 v[126:127], v[126:127], v[192:193]
	v_mul_f64 v[192:193], v[232:233], s[44:45]
	v_fma_f64 v[136:137], v[132:133], s[8:9], -v[136:137]
	s_delay_alu instid0(VALU_DEP_2) | instskip(NEXT) | instid1(VALU_DEP_2)
	v_fma_f64 v[196:197], v[176:177], s[20:21], -v[192:193]
	v_add_f64 v[136:137], v[10:11], v[136:137]
	s_delay_alu instid0(VALU_DEP_1) | instskip(SKIP_3) | instid1(VALU_DEP_1)
	v_add_f64 v[136:137], v[138:139], v[136:137]
	v_mul_f64 v[138:139], v[234:235], s[42:43]
	scratch_store_b64 off, v[138:139], off offset:568 ; 8-byte Folded Spill
	v_fma_f64 v[138:139], v[182:183], s[20:21], v[138:139]
	v_add_f64 v[134:135], v[138:139], v[134:135]
	v_mul_f64 v[138:139], v[236:237], s[42:43]
	scratch_store_b64 off, v[138:139], off offset:648 ; 8-byte Folded Spill
	v_fma_f64 v[138:139], v[198:199], s[20:21], -v[138:139]
	s_delay_alu instid0(VALU_DEP_1) | instskip(SKIP_3) | instid1(VALU_DEP_1)
	v_add_f64 v[136:137], v[138:139], v[136:137]
	v_mul_f64 v[138:139], v[238:239], s[38:39]
	scratch_store_b64 off, v[138:139], off offset:616 ; 8-byte Folded Spill
	v_fma_f64 v[138:139], v[190:191], s[24:25], v[138:139]
	v_add_f64 v[134:135], v[138:139], v[134:135]
	v_mul_f64 v[138:139], v[240:241], s[38:39]
	scratch_store_b64 off, v[138:139], off offset:664 ; 8-byte Folded Spill
	v_fma_f64 v[138:139], v[206:207], s[24:25], -v[138:139]
	;; [unrolled: 9-line block ×5, first 2 shown]
	s_delay_alu instid0(VALU_DEP_1) | instskip(SKIP_1) | instid1(VALU_DEP_1)
	v_add_f64 v[136:137], v[138:139], v[136:137]
	v_add_f64 v[138:139], v[110:111], -v[118:119]
	v_mul_f64 v[140:141], v[138:139], s[34:35]
	scratch_store_b64 off, v[140:141], off offset:4 ; 8-byte Folded Spill
	v_fma_f64 v[140:141], v[150:151], s[2:3], v[140:141]
	s_delay_alu instid0(VALU_DEP_1) | instskip(SKIP_1) | instid1(VALU_DEP_1)
	v_add_f64 v[160:161], v[140:141], v[134:135]
	v_add_f64 v[134:135], v[108:109], -v[116:117]
	v_mul_f64 v[140:141], v[134:135], s[34:35]
	scratch_store_b64 off, v[140:141], off offset:456 ; 8-byte Folded Spill
	v_fma_f64 v[140:141], v[154:155], s[2:3], -v[140:141]
	s_delay_alu instid0(VALU_DEP_1)
	v_add_f64 v[162:163], v[140:141], v[136:137]
	v_mul_f64 v[136:137], v[226:227], s[40:41]
	v_mul_f64 v[140:141], v[228:229], s[38:39]
	s_clause 0x1
	scratch_store_b64 off, v[136:137], off offset:1284
	scratch_store_b64 off, v[140:141], off offset:760
	v_fma_f64 v[136:137], v[250:251], s[16:17], v[136:137]
	v_fma_f64 v[140:141], v[166:167], s[24:25], v[140:141]
	s_delay_alu instid0(VALU_DEP_2) | instskip(NEXT) | instid1(VALU_DEP_1)
	v_add_f64 v[136:137], v[8:9], v[136:137]
	v_add_f64 v[136:137], v[140:141], v[136:137]
	v_mul_f64 v[140:141], v[230:231], s[40:41]
	scratch_store_b64 off, v[140:141], off offset:1332 ; 8-byte Folded Spill
	v_fma_f64 v[140:141], v[132:133], s[16:17], -v[140:141]
	s_delay_alu instid0(VALU_DEP_1) | instskip(NEXT) | instid1(VALU_DEP_1)
	v_add_f64 v[140:141], v[10:11], v[140:141]
	v_add_f64 v[140:141], v[142:143], v[140:141]
	v_mul_f64 v[142:143], v[234:235], s[28:29]
	scratch_store_b64 off, v[142:143], off offset:824 ; 8-byte Folded Spill
	v_fma_f64 v[142:143], v[182:183], s[18:19], v[142:143]
	s_delay_alu instid0(VALU_DEP_1) | instskip(SKIP_3) | instid1(VALU_DEP_1)
	v_add_f64 v[136:137], v[142:143], v[136:137]
	v_mul_f64 v[142:143], v[236:237], s[28:29]
	scratch_store_b64 off, v[142:143], off offset:888 ; 8-byte Folded Spill
	v_fma_f64 v[142:143], v[198:199], s[18:19], -v[142:143]
	v_add_f64 v[140:141], v[142:143], v[140:141]
	v_mul_f64 v[142:143], v[238:239], s[34:35]
	scratch_store_b64 off, v[142:143], off offset:872 ; 8-byte Folded Spill
	v_fma_f64 v[142:143], v[190:191], s[2:3], v[142:143]
	s_delay_alu instid0(VALU_DEP_1) | instskip(SKIP_3) | instid1(VALU_DEP_1)
	v_add_f64 v[136:137], v[142:143], v[136:137]
	v_mul_f64 v[142:143], v[240:241], s[34:35]
	scratch_store_b64 off, v[142:143], off offset:920 ; 8-byte Folded Spill
	v_fma_f64 v[142:143], v[206:207], s[2:3], -v[142:143]
	;; [unrolled: 9-line block ×5, first 2 shown]
	v_add_f64 v[140:141], v[142:143], v[140:141]
	v_mul_f64 v[142:143], v[138:139], s[46:47]
	s_clause 0x1
	scratch_store_b128 off, v[160:163], off offset:16
	scratch_store_b64 off, v[142:143], off offset:488
	v_fma_f64 v[142:143], v[150:151], s[8:9], v[142:143]
	s_delay_alu instid0(VALU_DEP_1)
	v_add_f64 v[160:161], v[142:143], v[136:137]
	v_mul_f64 v[136:137], v[134:135], s[46:47]
	v_mul_f64 v[142:143], v[232:233], s[28:29]
	s_clause 0x1
	scratch_store_b64 off, v[136:137], off offset:584
	scratch_store_b64 off, v[142:143], off offset:1076
	v_fma_f64 v[136:137], v[154:155], s[8:9], -v[136:137]
	v_fma_f64 v[142:143], v[176:177], s[18:19], -v[142:143]
	s_delay_alu instid0(VALU_DEP_2)
	v_add_f64 v[162:163], v[136:137], v[140:141]
	v_mul_f64 v[136:137], v[226:227], s[42:43]
	v_mul_f64 v[140:141], v[228:229], s[28:29]
	s_clause 0x1
	scratch_store_b64 off, v[136:137], off offset:1388
	scratch_store_b64 off, v[140:141], off offset:1008
	v_fma_f64 v[136:137], v[250:251], s[20:21], v[136:137]
	v_fma_f64 v[140:141], v[166:167], s[18:19], v[140:141]
	s_delay_alu instid0(VALU_DEP_2) | instskip(NEXT) | instid1(VALU_DEP_1)
	v_add_f64 v[136:137], v[8:9], v[136:137]
	v_add_f64 v[136:137], v[140:141], v[136:137]
	v_mul_f64 v[140:141], v[230:231], s[42:43]
	scratch_store_b64 off, v[140:141], off offset:1440 ; 8-byte Folded Spill
	v_fma_f64 v[140:141], v[132:133], s[20:21], -v[140:141]
	s_delay_alu instid0(VALU_DEP_1) | instskip(NEXT) | instid1(VALU_DEP_1)
	v_add_f64 v[140:141], v[10:11], v[140:141]
	v_add_f64 v[140:141], v[142:143], v[140:141]
	v_mul_f64 v[142:143], v[234:235], s[58:59]
	scratch_store_b64 off, v[142:143], off offset:1060 ; 8-byte Folded Spill
	v_fma_f64 v[142:143], v[182:183], s[2:3], v[142:143]
	s_delay_alu instid0(VALU_DEP_1) | instskip(SKIP_3) | instid1(VALU_DEP_1)
	v_add_f64 v[136:137], v[142:143], v[136:137]
	v_mul_f64 v[142:143], v[236:237], s[58:59]
	scratch_store_b64 off, v[142:143], off offset:1124 ; 8-byte Folded Spill
	v_fma_f64 v[142:143], v[198:199], s[2:3], -v[142:143]
	v_add_f64 v[140:141], v[142:143], v[140:141]
	v_mul_f64 v[142:143], v[238:239], s[48:49]
	scratch_store_b64 off, v[142:143], off offset:1108 ; 8-byte Folded Spill
	v_fma_f64 v[142:143], v[190:191], s[22:23], v[142:143]
	s_delay_alu instid0(VALU_DEP_1) | instskip(SKIP_3) | instid1(VALU_DEP_1)
	v_add_f64 v[136:137], v[142:143], v[136:137]
	v_mul_f64 v[142:143], v[240:241], s[48:49]
	scratch_store_b64 off, v[142:143], off offset:1156 ; 8-byte Folded Spill
	v_fma_f64 v[142:143], v[206:207], s[22:23], -v[142:143]
	;; [unrolled: 9-line block ×5, first 2 shown]
	v_add_f64 v[140:141], v[142:143], v[140:141]
	v_mul_f64 v[142:143], v[138:139], s[30:31]
	s_clause 0x1
	scratch_store_b128 off, v[160:163], off offset:32
	scratch_store_b64 off, v[142:143], off offset:712
	v_fma_f64 v[142:143], v[150:151], s[14:15], v[142:143]
	s_delay_alu instid0(VALU_DEP_1) | instskip(SKIP_3) | instid1(VALU_DEP_1)
	v_add_f64 v[160:161], v[142:143], v[136:137]
	v_mul_f64 v[136:137], v[134:135], s[30:31]
	scratch_store_b64 off, v[136:137], off offset:776 ; 8-byte Folded Spill
	v_fma_f64 v[136:137], v[154:155], s[14:15], -v[136:137]
	v_add_f64 v[162:163], v[136:137], v[140:141]
	v_mul_f64 v[136:137], v[226:227], s[38:39]
	v_mul_f64 v[140:141], v[228:229], s[34:35]
	s_clause 0x1
	scratch_store_b64 off, v[136:137], off offset:1512
	scratch_store_b64 off, v[140:141], off offset:1236
	v_fma_f64 v[136:137], v[250:251], s[24:25], v[136:137]
	v_fma_f64 v[142:143], v[166:167], s[2:3], v[140:141]
	v_mul_f64 v[140:141], v[230:231], s[38:39]
	s_delay_alu instid0(VALU_DEP_3) | instskip(SKIP_4) | instid1(VALU_DEP_2)
	v_add_f64 v[136:137], v[8:9], v[136:137]
	scratch_store_b64 off, v[140:141], off offset:1528 ; 8-byte Folded Spill
	v_add_f64 v[136:137], v[142:143], v[136:137]
	v_fma_f64 v[142:143], v[132:133], s[24:25], -v[140:141]
	v_mul_f64 v[140:141], v[232:233], s[34:35]
	v_add_f64 v[142:143], v[10:11], v[142:143]
	scratch_store_b64 off, v[140:141], off offset:1260 ; 8-byte Folded Spill
	v_fma_f64 v[152:153], v[176:177], s[2:3], -v[140:141]
	v_mul_f64 v[140:141], v[234:235], s[48:49]
	s_delay_alu instid0(VALU_DEP_2) | instskip(SKIP_3) | instid1(VALU_DEP_2)
	v_add_f64 v[142:143], v[152:153], v[142:143]
	scratch_store_b64 off, v[140:141], off offset:1252 ; 8-byte Folded Spill
	v_fma_f64 v[152:153], v[182:183], s[22:23], v[140:141]
	v_mul_f64 v[140:141], v[236:237], s[48:49]
	v_add_f64 v[136:137], v[152:153], v[136:137]
	scratch_store_b64 off, v[140:141], off offset:1292 ; 8-byte Folded Spill
	v_fma_f64 v[152:153], v[198:199], s[22:23], -v[140:141]
	v_mul_f64 v[140:141], v[238:239], s[46:47]
	s_delay_alu instid0(VALU_DEP_2) | instskip(SKIP_3) | instid1(VALU_DEP_2)
	v_add_f64 v[142:143], v[152:153], v[142:143]
	scratch_store_b64 off, v[140:141], off offset:1268 ; 8-byte Folded Spill
	v_fma_f64 v[152:153], v[190:191], s[8:9], v[140:141]
	;; [unrolled: 9-line block ×5, first 2 shown]
	v_mul_f64 v[140:141], v[254:255], s[54:55]
	v_add_f64 v[136:137], v[152:153], v[136:137]
	scratch_store_b64 off, v[140:141], off offset:1092 ; 8-byte Folded Spill
	v_fma_f64 v[152:153], v[168:169], s[18:19], -v[140:141]
	v_mul_f64 v[140:141], v[138:139], s[50:51]
	s_delay_alu instid0(VALU_DEP_2) | instskip(NEXT) | instid1(VALU_DEP_2)
	v_add_f64 v[142:143], v[152:153], v[142:143]
	v_fma_f64 v[152:153], v[150:151], s[16:17], v[140:141]
	scratch_store_b64 off, v[140:141], off offset:960 ; 8-byte Folded Spill
	v_add_f64 v[140:141], v[152:153], v[136:137]
	v_mul_f64 v[136:137], v[134:135], s[50:51]
	scratch_store_b64 off, v[136:137], off offset:976 ; 8-byte Folded Spill
	v_fma_f64 v[136:137], v[154:155], s[16:17], -v[136:137]
	s_delay_alu instid0(VALU_DEP_1)
	v_add_f64 v[142:143], v[136:137], v[142:143]
	scratch_store_b128 off, v[160:163], off offset:48 ; 16-byte Folded Spill
	v_fma_f64 v[136:137], v[250:251], s[22:23], v[178:179]
	v_fma_f64 v[160:161], v[176:177], s[22:23], -v[156:157]
	scratch_store_b128 off, v[140:143], off offset:64 ; 16-byte Folded Spill
	v_mul_f64 v[140:141], v[228:229], s[52:53]
	v_add_f64 v[136:137], v[8:9], v[136:137]
	s_delay_alu instid0(VALU_DEP_2)
	v_fma_f64 v[142:143], v[166:167], s[14:15], v[140:141]
	scratch_store_b64 off, v[140:141], off offset:1372 ; 8-byte Folded Spill
	v_mul_f64 v[140:141], v[232:233], s[52:53]
	v_add_f64 v[136:137], v[142:143], v[136:137]
	v_fma_f64 v[142:143], v[132:133], s[22:23], -v[180:181]
	scratch_store_b64 off, v[140:141], off offset:1424 ; 8-byte Folded Spill
	v_fma_f64 v[152:153], v[176:177], s[14:15], -v[140:141]
	v_mul_f64 v[140:141], v[234:235], s[50:51]
	v_add_f64 v[142:143], v[10:11], v[142:143]
	scratch_store_b64 off, v[140:141], off offset:1396 ; 8-byte Folded Spill
	v_add_f64 v[142:143], v[152:153], v[142:143]
	v_fma_f64 v[152:153], v[182:183], s[16:17], v[140:141]
	v_mul_f64 v[140:141], v[236:237], s[50:51]
	s_delay_alu instid0(VALU_DEP_2) | instskip(SKIP_3) | instid1(VALU_DEP_2)
	v_add_f64 v[136:137], v[152:153], v[136:137]
	scratch_store_b64 off, v[140:141], off offset:1456 ; 8-byte Folded Spill
	v_fma_f64 v[152:153], v[198:199], s[16:17], -v[140:141]
	v_mul_f64 v[140:141], v[238:239], s[42:43]
	v_add_f64 v[142:143], v[152:153], v[142:143]
	scratch_store_b64 off, v[140:141], off offset:1448 ; 8-byte Folded Spill
	v_fma_f64 v[152:153], v[190:191], s[20:21], v[140:141]
	v_mul_f64 v[140:141], v[240:241], s[42:43]
	s_delay_alu instid0(VALU_DEP_2) | instskip(SKIP_3) | instid1(VALU_DEP_2)
	v_add_f64 v[136:137], v[152:153], v[136:137]
	scratch_store_b64 off, v[140:141], off offset:1480 ; 8-byte Folded Spill
	v_fma_f64 v[152:153], v[206:207], s[20:21], -v[140:141]
	v_mul_f64 v[140:141], v[242:243], s[34:35]
	v_add_f64 v[142:143], v[152:153], v[142:143]
	scratch_store_b64 off, v[140:141], off offset:1472 ; 8-byte Folded Spill
	v_fma_f64 v[152:153], v[194:195], s[2:3], v[140:141]
	v_mul_f64 v[140:141], v[244:245], s[34:35]
	s_delay_alu instid0(VALU_DEP_2) | instskip(SKIP_3) | instid1(VALU_DEP_2)
	v_add_f64 v[136:137], v[152:153], v[136:137]
	scratch_store_b64 off, v[140:141], off offset:1488 ; 8-byte Folded Spill
	v_fma_f64 v[152:153], v[202:203], s[2:3], -v[140:141]
	v_mul_f64 v[140:141], v[246:247], s[56:57]
	v_add_f64 v[142:143], v[152:153], v[142:143]
	scratch_store_b64 off, v[140:141], off offset:1276 ; 8-byte Folded Spill
	v_fma_f64 v[152:153], v[172:173], s[24:25], v[140:141]
	v_mul_f64 v[140:141], v[248:249], s[56:57]
	s_delay_alu instid0(VALU_DEP_2) | instskip(SKIP_3) | instid1(VALU_DEP_2)
	v_add_f64 v[136:137], v[152:153], v[136:137]
	scratch_store_b64 off, v[140:141], off offset:1300 ; 8-byte Folded Spill
	v_fma_f64 v[152:153], v[186:187], s[24:25], -v[140:141]
	v_mul_f64 v[140:141], v[252:253], s[36:37]
	v_add_f64 v[142:143], v[152:153], v[142:143]
	scratch_store_b64 off, v[140:141], off offset:1228 ; 8-byte Folded Spill
	v_fma_f64 v[152:153], v[158:159], s[8:9], v[140:141]
	v_mul_f64 v[140:141], v[254:255], s[36:37]
	s_delay_alu instid0(VALU_DEP_2) | instskip(SKIP_3) | instid1(VALU_DEP_2)
	v_add_f64 v[136:137], v[152:153], v[136:137]
	scratch_store_b64 off, v[140:141], off offset:1244 ; 8-byte Folded Spill
	v_fma_f64 v[152:153], v[168:169], s[8:9], -v[140:141]
	v_mul_f64 v[140:141], v[138:139], s[28:29]
	v_add_f64 v[142:143], v[152:153], v[142:143]
	s_delay_alu instid0(VALU_DEP_2)
	v_fma_f64 v[152:153], v[150:151], s[18:19], v[140:141]
	scratch_store_b64 off, v[140:141], off offset:1212 ; 8-byte Folded Spill
	v_add_f64 v[140:141], v[152:153], v[136:137]
	v_mul_f64 v[136:137], v[134:135], s[28:29]
	scratch_store_b64 off, v[136:137], off offset:1220 ; 8-byte Folded Spill
	v_fma_f64 v[136:137], v[154:155], s[18:19], -v[136:137]
	s_delay_alu instid0(VALU_DEP_1) | instskip(SKIP_4) | instid1(VALU_DEP_2)
	v_add_f64 v[142:143], v[136:137], v[142:143]
	v_fma_f64 v[136:137], v[250:251], s[18:19], v[212:213]
	scratch_store_b128 off, v[140:143], off offset:80 ; 16-byte Folded Spill
	v_mul_f64 v[140:141], v[228:229], s[48:49]
	v_add_f64 v[136:137], v[8:9], v[136:137]
	v_fma_f64 v[152:153], v[166:167], s[22:23], v[140:141]
	scratch_store_b64 off, v[140:141], off offset:1520 ; 8-byte Folded Spill
	v_mul_f64 v[140:141], v[234:235], s[36:37]
	v_add_f64 v[136:137], v[152:153], v[136:137]
	v_fma_f64 v[152:153], v[132:133], s[18:19], -v[216:217]
	s_delay_alu instid0(VALU_DEP_3)
	v_fma_f64 v[162:163], v[182:183], s[8:9], v[140:141]
	scratch_store_b64 off, v[140:141], off offset:1536 ; 8-byte Folded Spill
	v_mul_f64 v[140:141], v[246:247], s[40:41]
	v_add_f64 v[152:153], v[10:11], v[152:153]
	v_add_f64 v[136:137], v[162:163], v[136:137]
	scratch_store_b64 off, v[140:141], off offset:1380 ; 8-byte Folded Spill
	v_add_f64 v[160:161], v[160:161], v[152:153]
	v_mul_f64 v[152:153], v[236:237], s[36:37]
	v_add_f64 v[136:137], v[170:171], v[136:137]
	v_mul_f64 v[170:171], v[240:241], s[30:31]
	s_delay_alu instid0(VALU_DEP_3) | instskip(NEXT) | instid1(VALU_DEP_2)
	v_fma_f64 v[164:165], v[198:199], s[8:9], -v[152:153]
	v_fma_f64 v[174:175], v[206:207], s[14:15], -v[170:171]
	s_delay_alu instid0(VALU_DEP_2) | instskip(NEXT) | instid1(VALU_DEP_1)
	v_add_f64 v[164:165], v[164:165], v[160:161]
	v_add_f64 v[184:185], v[174:175], v[164:165]
	v_mul_f64 v[164:165], v[242:243], s[56:57]
	s_delay_alu instid0(VALU_DEP_1) | instskip(NEXT) | instid1(VALU_DEP_1)
	v_fma_f64 v[174:175], v[194:195], s[24:25], v[164:165]
	v_add_f64 v[136:137], v[174:175], v[136:137]
	v_mul_f64 v[174:175], v[244:245], s[56:57]
	s_delay_alu instid0(VALU_DEP_1) | instskip(NEXT) | instid1(VALU_DEP_1)
	v_fma_f64 v[188:189], v[202:203], s[24:25], -v[174:175]
	v_add_f64 v[184:185], v[188:189], v[184:185]
	v_fma_f64 v[188:189], v[172:173], s[16:17], v[140:141]
	v_mul_f64 v[140:141], v[248:249], s[40:41]
	s_delay_alu instid0(VALU_DEP_2) | instskip(SKIP_3) | instid1(VALU_DEP_2)
	v_add_f64 v[136:137], v[188:189], v[136:137]
	scratch_store_b64 off, v[140:141], off offset:1416 ; 8-byte Folded Spill
	v_fma_f64 v[188:189], v[186:187], s[16:17], -v[140:141]
	v_mul_f64 v[140:141], v[252:253], s[34:35]
	v_add_f64 v[184:185], v[188:189], v[184:185]
	scratch_store_b64 off, v[140:141], off offset:1356 ; 8-byte Folded Spill
	v_fma_f64 v[188:189], v[158:159], s[2:3], v[140:141]
	v_mul_f64 v[140:141], v[254:255], s[34:35]
	s_delay_alu instid0(VALU_DEP_2) | instskip(SKIP_3) | instid1(VALU_DEP_2)
	v_add_f64 v[136:137], v[188:189], v[136:137]
	scratch_store_b64 off, v[140:141], off offset:1364 ; 8-byte Folded Spill
	v_fma_f64 v[188:189], v[168:169], s[2:3], -v[140:141]
	v_mul_f64 v[140:141], v[138:139], s[44:45]
	v_add_f64 v[184:185], v[188:189], v[184:185]
	s_delay_alu instid0(VALU_DEP_2)
	v_fma_f64 v[188:189], v[150:151], s[20:21], v[140:141]
	scratch_store_b64 off, v[140:141], off offset:1316 ; 8-byte Folded Spill
	v_add_f64 v[140:141], v[188:189], v[136:137]
	v_mul_f64 v[136:137], v[134:135], s[44:45]
	scratch_store_b64 off, v[136:137], off offset:1340 ; 8-byte Folded Spill
	v_fma_f64 v[136:137], v[154:155], s[20:21], -v[136:137]
	s_delay_alu instid0(VALU_DEP_1)
	v_add_f64 v[142:143], v[136:137], v[184:185]
	v_fma_f64 v[136:137], v[250:251], s[14:15], v[220:221]
	v_mul_f64 v[184:185], v[228:229], s[44:45]
	scratch_store_b128 off, v[140:143], off offset:96 ; 16-byte Folded Spill
	v_add_f64 v[136:137], v[8:9], v[136:137]
	v_fma_f64 v[188:189], v[166:167], s[20:21], v[184:185]
	s_delay_alu instid0(VALU_DEP_1) | instskip(SKIP_1) | instid1(VALU_DEP_1)
	v_add_f64 v[136:137], v[188:189], v[136:137]
	v_fma_f64 v[188:189], v[132:133], s[14:15], -v[222:223]
	v_add_f64 v[188:189], v[10:11], v[188:189]
	s_delay_alu instid0(VALU_DEP_1) | instskip(SKIP_1) | instid1(VALU_DEP_1)
	v_add_f64 v[196:197], v[196:197], v[188:189]
	v_mul_f64 v[188:189], v[234:235], s[38:39]
	v_fma_f64 v[200:201], v[182:183], s[24:25], v[188:189]
	s_delay_alu instid0(VALU_DEP_1) | instskip(SKIP_1) | instid1(VALU_DEP_1)
	v_add_f64 v[136:137], v[200:201], v[136:137]
	v_mul_f64 v[200:201], v[236:237], s[38:39]
	v_fma_f64 v[204:205], v[198:199], s[24:25], -v[200:201]
	s_delay_alu instid0(VALU_DEP_1) | instskip(SKIP_1) | instid1(VALU_DEP_1)
	v_add_f64 v[204:205], v[204:205], v[196:197]
	v_mul_f64 v[196:197], v[238:239], s[54:55]
	v_fma_f64 v[208:209], v[190:191], s[18:19], v[196:197]
	s_delay_alu instid0(VALU_DEP_1) | instskip(SKIP_1) | instid1(VALU_DEP_1)
	v_add_f64 v[136:137], v[208:209], v[136:137]
	v_mul_f64 v[208:209], v[240:241], s[54:55]
	v_fma_f64 v[210:211], v[206:207], s[18:19], -v[208:209]
	s_delay_alu instid0(VALU_DEP_1) | instskip(SKIP_1) | instid1(VALU_DEP_1)
	v_add_f64 v[210:211], v[210:211], v[204:205]
	v_mul_f64 v[204:205], v[242:243], s[36:37]
	v_fma_f64 v[214:215], v[194:195], s[8:9], v[204:205]
	s_delay_alu instid0(VALU_DEP_1) | instskip(SKIP_1) | instid1(VALU_DEP_1)
	v_add_f64 v[136:137], v[214:215], v[136:137]
	v_mul_f64 v[214:215], v[244:245], s[36:37]
	v_fma_f64 v[218:219], v[202:203], s[8:9], -v[214:215]
	s_delay_alu instid0(VALU_DEP_1) | instskip(SKIP_1) | instid1(VALU_DEP_1)
	v_add_f64 v[140:141], v[218:219], v[210:211]
	v_mul_f64 v[210:211], v[246:247], s[34:35]
	v_fma_f64 v[218:219], v[172:173], s[2:3], v[210:211]
	s_delay_alu instid0(VALU_DEP_1) | instskip(SKIP_1) | instid1(VALU_DEP_1)
	v_add_f64 v[136:137], v[218:219], v[136:137]
	v_mul_f64 v[218:219], v[248:249], s[34:35]
	v_fma_f64 v[142:143], v[186:187], s[2:3], -v[218:219]
	s_delay_alu instid0(VALU_DEP_1) | instskip(SKIP_3) | instid1(VALU_DEP_1)
	v_add_f64 v[140:141], v[142:143], v[140:141]
	v_mul_f64 v[142:143], v[252:253], s[50:51]
	scratch_store_b64 off, v[142:143], off offset:1496 ; 8-byte Folded Spill
	v_fma_f64 v[142:143], v[158:159], s[16:17], v[142:143]
	v_add_f64 v[142:143], v[142:143], v[136:137]
	v_mul_f64 v[136:137], v[254:255], s[50:51]
	scratch_store_b64 off, v[136:137], off offset:1504 ; 8-byte Folded Spill
	v_fma_f64 v[136:137], v[168:169], s[16:17], -v[136:137]
	s_delay_alu instid0(VALU_DEP_1) | instskip(SKIP_4) | instid1(VALU_DEP_1)
	v_add_f64 v[136:137], v[136:137], v[140:141]
	v_mul_f64 v[140:141], v[138:139], s[26:27]
	v_mul_f64 v[138:139], v[138:139], s[56:57]
	scratch_store_b64 off, v[140:141], off offset:1432 ; 8-byte Folded Spill
	v_fma_f64 v[140:141], v[150:151], s[22:23], v[140:141]
	v_add_f64 v[160:161], v[140:141], v[142:143]
	v_mul_f64 v[140:141], v[134:135], s[26:27]
	v_mul_f64 v[134:135], v[134:135], s[56:57]
	scratch_store_b64 off, v[140:141], off offset:1464 ; 8-byte Folded Spill
	v_fma_f64 v[140:141], v[154:155], s[22:23], -v[140:141]
	s_delay_alu instid0(VALU_DEP_1)
	v_add_f64 v[162:163], v[140:141], v[136:137]
	v_mul_f64 v[136:137], v[226:227], s[34:35]
	v_mul_f64 v[140:141], v[228:229], s[46:47]
	;; [unrolled: 1-line block ×3, first 2 shown]
	scratch_store_b128 off, v[160:163], off offset:112 ; 16-byte Folded Spill
	v_fma_f64 v[142:143], v[250:251], s[2:3], -v[136:137]
	v_fma_f64 v[226:227], v[166:167], s[8:9], -v[140:141]
	v_fma_f64 v[232:233], v[176:177], s[8:9], v[228:229]
	v_fma_f64 v[136:137], v[250:251], s[2:3], v[136:137]
	;; [unrolled: 1-line block ×3, first 2 shown]
	v_add_f64 v[142:143], v[8:9], v[142:143]
	s_delay_alu instid0(VALU_DEP_3) | instskip(NEXT) | instid1(VALU_DEP_2)
	v_add_f64 v[136:137], v[8:9], v[136:137]
	v_add_f64 v[142:143], v[226:227], v[142:143]
	v_mul_f64 v[226:227], v[230:231], s[34:35]
	s_delay_alu instid0(VALU_DEP_3) | instskip(NEXT) | instid1(VALU_DEP_2)
	v_add_f64 v[136:137], v[140:141], v[136:137]
	v_fma_f64 v[230:231], v[132:133], s[2:3], v[226:227]
	v_fma_f64 v[140:141], v[132:133], s[2:3], -v[226:227]
	scratch_load_b32 v226, off, off offset:12 ; 4-byte Folded Reload
	v_add_f64 v[230:231], v[10:11], v[230:231]
	v_add_f64 v[140:141], v[10:11], v[140:141]
	s_delay_alu instid0(VALU_DEP_2) | instskip(SKIP_1) | instid1(VALU_DEP_1)
	v_add_f64 v[230:231], v[232:233], v[230:231]
	v_mul_f64 v[232:233], v[234:235], s[30:31]
	v_fma_f64 v[234:235], v[182:183], s[14:15], -v[232:233]
	s_delay_alu instid0(VALU_DEP_1) | instskip(SKIP_1) | instid1(VALU_DEP_1)
	v_add_f64 v[142:143], v[234:235], v[142:143]
	v_mul_f64 v[234:235], v[236:237], s[30:31]
	v_fma_f64 v[236:237], v[198:199], s[14:15], v[234:235]
	s_delay_alu instid0(VALU_DEP_1) | instskip(SKIP_1) | instid1(VALU_DEP_1)
	v_add_f64 v[230:231], v[236:237], v[230:231]
	v_mul_f64 v[236:237], v[238:239], s[50:51]
	v_fma_f64 v[238:239], v[190:191], s[16:17], -v[236:237]
	s_delay_alu instid0(VALU_DEP_1) | instskip(SKIP_1) | instid1(VALU_DEP_1)
	v_add_f64 v[142:143], v[238:239], v[142:143]
	v_mul_f64 v[238:239], v[240:241], s[50:51]
	v_fma_f64 v[240:241], v[206:207], s[16:17], v[238:239]
	s_delay_alu instid0(VALU_DEP_1) | instskip(SKIP_1) | instid1(VALU_DEP_1)
	v_add_f64 v[230:231], v[240:241], v[230:231]
	v_mul_f64 v[240:241], v[242:243], s[28:29]
	v_fma_f64 v[242:243], v[194:195], s[18:19], -v[240:241]
	s_delay_alu instid0(VALU_DEP_1) | instskip(SKIP_1) | instid1(VALU_DEP_1)
	v_add_f64 v[142:143], v[242:243], v[142:143]
	v_mul_f64 v[242:243], v[244:245], s[28:29]
	v_fma_f64 v[244:245], v[202:203], s[18:19], v[242:243]
	s_delay_alu instid0(VALU_DEP_1) | instskip(SKIP_1) | instid1(VALU_DEP_1)
	v_add_f64 v[230:231], v[244:245], v[230:231]
	v_mul_f64 v[244:245], v[246:247], s[44:45]
	v_fma_f64 v[246:247], v[172:173], s[20:21], -v[244:245]
	s_delay_alu instid0(VALU_DEP_1) | instskip(SKIP_1) | instid1(VALU_DEP_1)
	v_add_f64 v[142:143], v[246:247], v[142:143]
	v_mul_f64 v[246:247], v[248:249], s[44:45]
	v_fma_f64 v[248:249], v[186:187], s[20:21], v[246:247]
	s_delay_alu instid0(VALU_DEP_1) | instskip(SKIP_1) | instid1(VALU_DEP_1)
	v_add_f64 v[230:231], v[248:249], v[230:231]
	v_mul_f64 v[248:249], v[252:253], s[26:27]
	v_fma_f64 v[252:253], v[158:159], s[22:23], -v[248:249]
	s_delay_alu instid0(VALU_DEP_1) | instskip(SKIP_1) | instid1(VALU_DEP_1)
	v_add_f64 v[142:143], v[252:253], v[142:143]
	v_mul_f64 v[252:253], v[254:255], s[26:27]
	v_fma_f64 v[254:255], v[168:169], s[22:23], v[252:253]
	s_delay_alu instid0(VALU_DEP_1) | instskip(SKIP_2) | instid1(VALU_DEP_2)
	v_add_f64 v[230:231], v[254:255], v[230:231]
	v_fma_f64 v[254:255], v[150:151], s[24:25], -v[138:139]
	v_fma_f64 v[138:139], v[150:151], s[24:25], v[138:139]
	v_add_f64 v[160:161], v[254:255], v[142:143]
	v_fma_f64 v[142:143], v[154:155], s[24:25], v[134:135]
	v_fma_f64 v[134:135], v[154:155], s[24:25], -v[134:135]
	s_delay_alu instid0(VALU_DEP_2) | instskip(SKIP_1) | instid1(VALU_DEP_1)
	v_add_f64 v[162:163], v[142:143], v[230:231]
	v_fma_f64 v[142:143], v[176:177], s[8:9], -v[228:229]
	v_add_f64 v[140:141], v[142:143], v[140:141]
	v_fma_f64 v[142:143], v[182:183], s[14:15], v[232:233]
	s_delay_alu instid0(VALU_DEP_1) | instskip(SKIP_1) | instid1(VALU_DEP_1)
	v_add_f64 v[136:137], v[142:143], v[136:137]
	v_fma_f64 v[142:143], v[198:199], s[14:15], -v[234:235]
	v_add_f64 v[140:141], v[142:143], v[140:141]
	v_fma_f64 v[142:143], v[190:191], s[16:17], v[236:237]
	s_delay_alu instid0(VALU_DEP_1) | instskip(SKIP_1) | instid1(VALU_DEP_1)
	;; [unrolled: 5-line block ×4, first 2 shown]
	v_add_f64 v[136:137], v[142:143], v[136:137]
	v_fma_f64 v[142:143], v[186:187], s[20:21], -v[246:247]
	v_add_f64 v[140:141], v[142:143], v[140:141]
	v_fma_f64 v[142:143], v[158:159], s[22:23], v[248:249]
	s_delay_alu instid0(VALU_DEP_1) | instskip(SKIP_1) | instid1(VALU_DEP_2)
	v_add_f64 v[136:137], v[142:143], v[136:137]
	v_fma_f64 v[142:143], v[168:169], s[22:23], -v[252:253]
	v_add_f64 v[136:137], v[138:139], v[136:137]
	s_delay_alu instid0(VALU_DEP_2) | instskip(NEXT) | instid1(VALU_DEP_1)
	v_add_f64 v[140:141], v[142:143], v[140:141]
	v_add_f64 v[138:139], v[134:135], v[140:141]
	scratch_load_b32 v135, off, off         ; 4-byte Folded Reload
	s_clause 0x1
	scratch_store_b128 off, v[160:163], off offset:128
	scratch_store_b128 off, v[136:139], off offset:144
	s_waitcnt vmcnt(0)
	s_waitcnt_vscnt null, 0x0
	s_barrier
	buffer_gl0_inv
	v_mul_lo_u16 v134, v135, 17
	s_delay_alu instid0(VALU_DEP_1) | instskip(NEXT) | instid1(VALU_DEP_1)
	v_and_b32_e32 v134, 0xffff, v134
	v_lshl_add_u32 v134, v134, 4, v226
	ds_store_b128 v134, v[24:27]
	ds_store_b128 v134, v[32:35] offset:16
	ds_store_b128 v134, v[40:43] offset:32
	;; [unrolled: 1-line block ×15, first 2 shown]
	v_add_co_u32 v24, null, v135, 17
	ds_store_b128 v134, v[28:31] offset:256
	v_mul_u32_u24_e32 v25, 17, v24
	s_clause 0x1
	scratch_store_b32 off, v134, off offset:1056
	scratch_store_b32 off, v25, off offset:1412
	s_and_saveexec_b32 s26, vcc_lo
	s_cbranch_execz .LBB0_7
; %bb.6:
	v_add_f64 v[22:23], v[10:11], v[22:23]
	v_add_f64 v[20:21], v[8:9], v[20:21]
	s_clause 0x3
	scratch_load_b64 v[35:36], off, off offset:1528
	scratch_load_b64 v[37:38], off, off offset:1512
	;; [unrolled: 1-line block ×4, first 2 shown]
	v_mul_f64 v[25:26], v[132:133], s[18:19]
	s_clause 0x5
	scratch_load_b64 v[43:44], off, off offset:1332
	scratch_load_b64 v[45:46], off, off offset:1284
	;; [unrolled: 1-line block ×6, first 2 shown]
	v_mul_f64 v[55:56], v[190:191], s[18:19]
	v_mul_f64 v[63:64], v[206:207], s[14:15]
	;; [unrolled: 1-line block ×3, first 2 shown]
	s_clause 0x2
	scratch_load_b64 v[47:48], off, off offset:1024
	scratch_load_b64 v[49:50], off, off offset:992
	;; [unrolled: 1-line block ×3, first 2 shown]
	v_mul_f64 v[31:32], v[250:251], s[22:23]
	scratch_load_b64 v[127:128], off, off offset:920 ; 8-byte Folded Reload
	v_mul_f64 v[29:30], v[132:133], s[22:23]
	scratch_load_b64 v[129:130], off, off offset:888 ; 8-byte Folded Reload
	v_mul_f64 v[53:54], v[194:195], s[8:9]
	v_mul_f64 v[51:52], v[172:173], s[2:3]
	s_clause 0x4
	scratch_load_b64 v[137:138], off, off offset:760
	scratch_load_b64 v[160:161], off, off offset:792
	;; [unrolled: 1-line block ×5, first 2 shown]
	v_mul_f64 v[59:60], v[166:167], s[20:21]
	v_mul_f64 v[65:66], v[198:199], s[8:9]
	;; [unrolled: 1-line block ×7, first 2 shown]
	s_clause 0x2
	scratch_load_b64 v[227:228], off, off offset:1220
	scratch_load_b64 v[230:231], off, off offset:1212
	;; [unrolled: 1-line block ×3, first 2 shown]
	v_add_f64 v[22:23], v[22:23], v[74:75]
	v_add_f64 v[20:21], v[20:21], v[72:73]
	v_mul_f64 v[73:74], v[182:183], s[8:9]
	v_mul_f64 v[71:72], v[190:191], s[14:15]
	v_add_f64 v[25:26], v[216:217], v[25:26]
	s_clause 0x2
	scratch_load_b64 v[216:217], off, off offset:1464
	scratch_load_b64 v[232:233], off, off offset:976
	;; [unrolled: 1-line block ×3, first 2 shown]
	v_add_f64 v[55:56], v[55:56], -v[196:197]
	v_add_f64 v[63:64], v[170:171], v[63:64]
	s_clause 0x1
	scratch_load_b64 v[170:171], off, off offset:1380
	scratch_load_b64 v[196:197], off, off offset:1364
	v_add_f64 v[31:32], v[31:32], -v[178:179]
	scratch_load_b64 v[178:179], off, off offset:1188 ; 8-byte Folded Reload
	v_add_f64 v[29:30], v[180:181], v[29:30]
	scratch_load_b64 v[180:181], off, off offset:1172 ; 8-byte Folded Reload
	v_add_f64 v[53:54], v[53:54], -v[204:205]
	v_add_f64 v[51:52], v[51:52], -v[210:211]
	s_clause 0x1
	scratch_load_b64 v[210:211], off, off offset:856
	scratch_load_b64 v[135:136], off, off offset:824
	v_add_f64 v[59:60], v[59:60], -v[184:185]
	scratch_load_b64 v[184:185], off, off offset:928 ; 8-byte Folded Reload
	v_add_f64 v[65:66], v[152:153], v[65:66]
	scratch_load_b64 v[152:153], off, off offset:616 ; 8-byte Folded Reload
	v_add_f64 v[67:68], v[156:157], v[67:68]
	scratch_load_b64 v[156:157], off, off offset:808 ; 8-byte Folded Reload
	v_add_f64 v[57:58], v[57:58], -v[188:189]
	scratch_load_b64 v[188:189], off, off offset:744 ; 8-byte Folded Reload
	v_add_f64 v[69:70], v[69:70], -v[164:165]
	scratch_load_b64 v[164:165], off, off offset:632 ; 8-byte Folded Reload
	v_add_f64 v[22:23], v[22:23], v[78:79]
	v_add_f64 v[20:21], v[20:21], v[76:77]
	s_clause 0x1
	scratch_load_b64 v[75:76], off, off offset:1536
	scratch_load_b64 v[77:78], off, off offset:1520
	v_add_f64 v[25:26], v[10:11], v[25:26]
	v_add_f64 v[71:72], v[71:72], -v[148:149]
	v_add_f64 v[61:62], v[174:175], v[61:62]
	scratch_load_b64 v[174:175], off, off offset:1300 ; 8-byte Folded Reload
	v_add_f64 v[27:28], v[27:28], -v[212:213]
	scratch_load_b64 v[212:213], off, off offset:696 ; 8-byte Folded Reload
	v_add_f64 v[31:32], v[8:9], v[31:32]
	v_add_f64 v[29:30], v[10:11], v[29:30]
	;; [unrolled: 1-line block ×4, first 2 shown]
	s_clause 0x1
	scratch_load_b64 v[79:80], off, off offset:1488
	scratch_load_b64 v[81:82], off, off offset:1480
	v_add_f64 v[25:26], v[67:68], v[25:26]
	v_add_f64 v[27:28], v[8:9], v[27:28]
	;; [unrolled: 1-line block ×4, first 2 shown]
	s_clause 0x1
	scratch_load_b64 v[83:84], off, off offset:1456
	scratch_load_b64 v[85:86], off, off offset:1424
	v_add_f64 v[25:26], v[65:66], v[25:26]
	v_add_f64 v[22:23], v[22:23], v[90:91]
	;; [unrolled: 1-line block ×3, first 2 shown]
	s_clause 0x1
	scratch_load_b64 v[87:88], off, off offset:1472
	scratch_load_b64 v[89:90], off, off offset:1448
	v_add_f64 v[25:26], v[63:64], v[25:26]
	v_add_f64 v[22:23], v[22:23], v[94:95]
	;; [unrolled: 1-line block ×3, first 2 shown]
	s_clause 0x2
	scratch_load_b64 v[91:92], off, off offset:1396
	scratch_load_b64 v[93:94], off, off offset:1372
	;; [unrolled: 1-line block ×3, first 2 shown]
	v_add_f64 v[22:23], v[22:23], v[110:111]
	v_add_f64 v[20:21], v[20:21], v[108:109]
	s_clause 0x1
	scratch_load_b64 v[107:108], off, off offset:1252
	scratch_load_b64 v[109:110], off, off offset:1236
	v_add_f64 v[22:23], v[22:23], v[118:119]
	v_add_f64 v[20:21], v[20:21], v[116:117]
	scratch_load_b64 v[117:118], off, off offset:1076 ; 8-byte Folded Reload
	s_waitcnt vmcnt(52)
	v_add_f64 v[33:34], v[35:36], v[33:34]
	v_mul_f64 v[35:36], v[250:251], s[24:25]
	v_add_f64 v[22:23], v[22:23], v[122:123]
	v_add_f64 v[20:21], v[20:21], v[120:121]
	s_clause 0x3
	scratch_load_b64 v[121:122], off, off offset:1108
	scratch_load_b64 v[119:120], off, off offset:1140
	scratch_load_b64 v[123:124], off, off offset:1060
	scratch_load_b64 v[204:205], off, off offset:1092
	v_add_f64 v[33:34], v[10:11], v[33:34]
	s_waitcnt vmcnt(55)
	v_add_f64 v[35:36], v[35:36], -v[37:38]
	v_mul_f64 v[37:38], v[132:133], s[20:21]
	v_add_f64 v[22:23], v[22:23], v[146:147]
	v_add_f64 v[20:21], v[20:21], v[144:145]
	s_clause 0x2
	scratch_load_b64 v[143:144], off, off offset:552
	scratch_load_b64 v[147:148], off, off offset:568
	;; [unrolled: 1-line block ×3, first 2 shown]
	v_add_f64 v[35:36], v[8:9], v[35:36]
	s_waitcnt vmcnt(22)
	v_add_f64 v[73:74], v[73:74], -v[75:76]
	v_mul_f64 v[75:76], v[166:167], s[22:23]
	v_add_f64 v[37:38], v[39:40], v[37:38]
	v_mul_f64 v[39:40], v[250:251], s[20:21]
	v_add_f64 v[22:23], v[22:23], v[114:115]
	v_add_f64 v[20:21], v[20:21], v[112:113]
	s_clause 0x2
	scratch_load_b64 v[111:112], off, off offset:1204
	scratch_load_b64 v[113:114], off, off offset:1156
	;; [unrolled: 1-line block ×3, first 2 shown]
	s_waitcnt vmcnt(24)
	v_add_f64 v[75:76], v[75:76], -v[77:78]
	v_mul_f64 v[77:78], v[202:203], s[2:3]
	v_add_f64 v[39:40], v[39:40], -v[41:42]
	v_mul_f64 v[41:42], v[132:133], s[16:17]
	v_add_f64 v[37:38], v[10:11], v[37:38]
	v_add_f64 v[18:19], v[22:23], v[18:19]
	v_mul_f64 v[22:23], v[250:251], s[14:15]
	v_add_f64 v[16:17], v[20:21], v[16:17]
	v_mul_f64 v[20:21], v[132:133], s[14:15]
	v_add_f64 v[27:28], v[75:76], v[27:28]
	s_waitcnt vmcnt(21)
	v_add_f64 v[77:78], v[79:80], v[77:78]
	v_mul_f64 v[79:80], v[206:207], s[20:21]
	v_add_f64 v[39:40], v[8:9], v[39:40]
	v_add_f64 v[14:15], v[18:19], v[14:15]
	v_add_f64 v[22:23], v[22:23], -v[220:221]
	s_clause 0x1
	scratch_load_b64 v[220:221], off, off offset:1340
	scratch_load_b64 v[97:98], off, off offset:1324
	v_add_f64 v[20:21], v[222:223], v[20:21]
	scratch_load_b64 v[222:223], off, off offset:1316 ; 8-byte Folded Reload
	v_add_f64 v[41:42], v[43:44], v[41:42]
	v_mul_f64 v[43:44], v[250:251], s[16:17]
	v_add_f64 v[12:13], v[16:17], v[12:13]
	v_mul_f64 v[16:17], v[186:187], s[2:3]
	v_mul_f64 v[18:19], v[202:203], s[8:9]
	v_add_f64 v[27:28], v[73:74], v[27:28]
	s_waitcnt vmcnt(23)
	v_add_f64 v[79:80], v[81:82], v[79:80]
	v_mul_f64 v[81:82], v[198:199], s[16:17]
	v_add_f64 v[22:23], v[8:9], v[22:23]
	v_add_f64 v[20:21], v[10:11], v[20:21]
	;; [unrolled: 1-line block ×3, first 2 shown]
	v_add_f64 v[43:44], v[43:44], -v[45:46]
	v_mul_f64 v[45:46], v[132:133], s[8:9]
	s_clause 0x1
	scratch_load_b64 v[131:132], off, off offset:840
	scratch_load_b64 v[133:134], off, off offset:872
	v_add_f64 v[16:17], v[218:219], v[16:17]
	scratch_load_b64 v[218:219], off, off offset:1432 ; 8-byte Folded Reload
	v_add_f64 v[18:19], v[214:215], v[18:19]
	scratch_load_b64 v[214:215], off, off offset:680 ; 8-byte Folded Reload
	v_add_f64 v[27:28], v[71:72], v[27:28]
	s_waitcnt vmcnt(26)
	v_add_f64 v[81:82], v[83:84], v[81:82]
	v_mul_f64 v[83:84], v[176:177], s[14:15]
	v_add_f64 v[22:23], v[59:60], v[22:23]
	scratch_load_b64 v[59:60], off, off offset:712 ; 8-byte Folded Reload
	v_add_f64 v[43:44], v[8:9], v[43:44]
	v_add_f64 v[45:46], v[47:48], v[45:46]
	v_mul_f64 v[47:48], v[250:251], s[8:9]
	s_waitcnt vmcnt(26)
	v_add_f64 v[83:84], v[85:86], v[83:84]
	v_mul_f64 v[85:86], v[194:195], s[2:3]
	v_add_f64 v[22:23], v[57:58], v[22:23]
	scratch_load_b64 v[57:58], off, off offset:584 ; 8-byte Folded Reload
	v_add_f64 v[10:11], v[10:11], v[45:46]
	v_mul_f64 v[45:46], v[206:207], s[18:19]
	v_add_f64 v[47:48], v[47:48], -v[49:50]
	v_mul_f64 v[49:50], v[176:177], s[20:21]
	v_add_f64 v[29:30], v[83:84], v[29:30]
	s_waitcnt vmcnt(26)
	v_add_f64 v[85:86], v[85:86], -v[87:88]
	v_mul_f64 v[87:88], v[190:191], s[20:21]
	v_add_f64 v[22:23], v[55:56], v[22:23]
	scratch_load_b64 v[55:56], off, off offset:488 ; 8-byte Folded Reload
	v_add_f64 v[45:46], v[208:209], v[45:46]
	scratch_load_b64 v[208:209], off, off offset:904 ; 8-byte Folded Reload
	v_add_f64 v[8:9], v[8:9], v[47:48]
	v_mul_f64 v[47:48], v[198:199], s[24:25]
	v_add_f64 v[49:50], v[192:193], v[49:50]
	scratch_load_b64 v[192:193], off, off offset:1504 ; 8-byte Folded Reload
	v_add_f64 v[29:30], v[81:82], v[29:30]
	s_waitcnt vmcnt(28)
	v_add_f64 v[87:88], v[87:88], -v[89:90]
	v_mul_f64 v[89:90], v[182:183], s[16:17]
	v_add_f64 v[47:48], v[200:201], v[47:48]
	scratch_load_b64 v[200:201], off, off offset:1244 ; 8-byte Folded Reload
	v_add_f64 v[20:21], v[49:50], v[20:21]
	v_mul_f64 v[49:50], v[150:151], s[14:15]
	v_add_f64 v[29:30], v[79:80], v[29:30]
	s_waitcnt vmcnt(28)
	v_add_f64 v[89:90], v[89:90], -v[91:92]
	v_mul_f64 v[91:92], v[166:167], s[14:15]
	v_add_f64 v[20:21], v[47:48], v[20:21]
	v_mul_f64 v[47:48], v[154:155], s[8:9]
	s_waitcnt vmcnt(27)
	s_delay_alu instid0(VALU_DEP_3) | instskip(SKIP_1) | instid1(VALU_DEP_4)
	v_add_f64 v[91:92], v[91:92], -v[93:94]
	v_mul_f64 v[93:94], v[202:203], s[20:21]
	v_add_f64 v[20:21], v[45:46], v[20:21]
	v_mul_f64 v[45:46], v[150:151], s[8:9]
	s_delay_alu instid0(VALU_DEP_4) | instskip(SKIP_1) | instid1(VALU_DEP_4)
	v_add_f64 v[31:32], v[91:92], v[31:32]
	s_waitcnt vmcnt(26)
	v_add_f64 v[93:94], v[95:96], v[93:94]
	v_mul_f64 v[95:96], v[206:207], s[8:9]
	v_add_f64 v[18:19], v[18:19], v[20:21]
	v_add_f64 v[20:21], v[53:54], v[22:23]
	;; [unrolled: 1-line block ×5, first 2 shown]
	scratch_load_b64 v[53:54], off, off offset:456 ; 8-byte Folded Reload
	v_add_f64 v[31:32], v[89:90], v[31:32]
	s_waitcnt vmcnt(12)
	v_add_f64 v[95:96], v[97:98], v[95:96]
	v_mul_f64 v[97:98], v[198:199], s[22:23]
	v_add_f64 v[16:17], v[16:17], v[18:19]
	v_add_f64 v[18:19], v[51:52], v[20:21]
	scratch_load_b64 v[51:52], off, off offset:4 ; 8-byte Folded Reload
	v_add_f64 v[31:32], v[87:88], v[31:32]
	v_add_f64 v[97:98], v[99:100], v[97:98]
	v_mul_f64 v[99:100], v[176:177], s[2:3]
	s_delay_alu instid0(VALU_DEP_3) | instskip(NEXT) | instid1(VALU_DEP_2)
	v_add_f64 v[31:32], v[85:86], v[31:32]
	v_add_f64 v[99:100], v[101:102], v[99:100]
	v_mul_f64 v[101:102], v[194:195], s[20:21]
	s_waitcnt vmcnt(6)
	v_add_f64 v[47:48], v[57:58], v[47:48]
	v_add_f64 v[57:58], v[12:13], v[4:5]
	s_delay_alu instid0(VALU_DEP_4) | instskip(NEXT) | instid1(VALU_DEP_4)
	v_add_f64 v[33:34], v[99:100], v[33:34]
	v_add_f64 v[101:102], v[101:102], -v[103:104]
	v_mul_f64 v[103:104], v[190:191], s[8:9]
	s_waitcnt vmcnt(5)
	v_add_f64 v[45:46], v[45:46], -v[55:56]
	v_add_f64 v[55:56], v[14:15], v[6:7]
	v_add_f64 v[0:1], v[57:58], v[0:1]
	;; [unrolled: 1-line block ×3, first 2 shown]
	v_add_f64 v[103:104], v[103:104], -v[105:106]
	v_mul_f64 v[105:106], v[182:183], s[22:23]
	v_add_f64 v[2:3], v[55:56], v[2:3]
	s_delay_alu instid0(VALU_DEP_4) | instskip(NEXT) | instid1(VALU_DEP_3)
	v_add_f64 v[33:34], v[95:96], v[33:34]
	v_add_f64 v[105:106], v[105:106], -v[107:108]
	v_mul_f64 v[107:108], v[166:167], s[2:3]
	s_delay_alu instid0(VALU_DEP_3) | instskip(NEXT) | instid1(VALU_DEP_2)
	v_add_f64 v[29:30], v[93:94], v[33:34]
	v_add_f64 v[107:108], v[107:108], -v[109:110]
	v_mul_f64 v[109:110], v[202:203], s[16:17]
	s_delay_alu instid0(VALU_DEP_2) | instskip(NEXT) | instid1(VALU_DEP_2)
	v_add_f64 v[35:36], v[107:108], v[35:36]
	v_add_f64 v[109:110], v[111:112], v[109:110]
	v_mul_f64 v[111:112], v[206:207], s[22:23]
	s_delay_alu instid0(VALU_DEP_3) | instskip(NEXT) | instid1(VALU_DEP_2)
	v_add_f64 v[35:36], v[105:106], v[35:36]
	v_add_f64 v[111:112], v[113:114], v[111:112]
	v_mul_f64 v[113:114], v[198:199], s[2:3]
	s_delay_alu instid0(VALU_DEP_3) | instskip(NEXT) | instid1(VALU_DEP_2)
	;; [unrolled: 4-line block ×3, first 2 shown]
	v_add_f64 v[35:36], v[101:102], v[35:36]
	v_add_f64 v[115:116], v[117:118], v[115:116]
	v_mul_f64 v[117:118], v[194:195], s[16:17]
	s_delay_alu instid0(VALU_DEP_2) | instskip(NEXT) | instid1(VALU_DEP_2)
	v_add_f64 v[37:38], v[115:116], v[37:38]
	v_add_f64 v[117:118], v[117:118], -v[119:120]
	v_mul_f64 v[119:120], v[190:191], s[22:23]
	s_delay_alu instid0(VALU_DEP_3) | instskip(NEXT) | instid1(VALU_DEP_2)
	v_add_f64 v[37:38], v[113:114], v[37:38]
	v_add_f64 v[119:120], v[119:120], -v[121:122]
	v_mul_f64 v[121:122], v[182:183], s[2:3]
	s_delay_alu instid0(VALU_DEP_3) | instskip(NEXT) | instid1(VALU_DEP_2)
	;; [unrolled: 4-line block ×3, first 2 shown]
	v_add_f64 v[33:34], v[109:110], v[37:38]
	v_add_f64 v[123:124], v[123:124], -v[125:126]
	v_mul_f64 v[125:126], v[206:207], s[2:3]
	s_delay_alu instid0(VALU_DEP_2) | instskip(NEXT) | instid1(VALU_DEP_2)
	v_add_f64 v[39:40], v[123:124], v[39:40]
	v_add_f64 v[125:126], v[127:128], v[125:126]
	v_mul_f64 v[127:128], v[198:199], s[18:19]
	s_delay_alu instid0(VALU_DEP_3) | instskip(NEXT) | instid1(VALU_DEP_2)
	v_add_f64 v[39:40], v[121:122], v[39:40]
	v_add_f64 v[127:128], v[129:130], v[127:128]
	v_mul_f64 v[129:130], v[176:177], s[24:25]
	s_delay_alu instid0(VALU_DEP_3) | instskip(NEXT) | instid1(VALU_DEP_2)
	v_add_f64 v[39:40], v[119:120], v[39:40]
	v_add_f64 v[129:130], v[131:132], v[129:130]
	v_mul_f64 v[131:132], v[190:191], s[2:3]
	s_delay_alu instid0(VALU_DEP_3) | instskip(NEXT) | instid1(VALU_DEP_3)
	v_add_f64 v[39:40], v[117:118], v[39:40]
	v_add_f64 v[41:42], v[129:130], v[41:42]
	s_delay_alu instid0(VALU_DEP_3) | instskip(SKIP_1) | instid1(VALU_DEP_3)
	v_add_f64 v[131:132], v[131:132], -v[133:134]
	v_mul_f64 v[133:134], v[182:183], s[18:19]
	v_add_f64 v[41:42], v[127:128], v[41:42]
	s_delay_alu instid0(VALU_DEP_2) | instskip(SKIP_1) | instid1(VALU_DEP_3)
	v_add_f64 v[133:134], v[133:134], -v[135:136]
	v_mul_f64 v[135:136], v[166:167], s[24:25]
	v_add_f64 v[41:42], v[125:126], v[41:42]
	s_delay_alu instid0(VALU_DEP_2)
	v_add_f64 v[135:136], v[135:136], -v[137:138]
	v_mul_f64 v[137:138], v[206:207], s[24:25]
	scratch_load_b64 v[206:207], off, off offset:1040 ; 8-byte Folded Reload
	v_add_f64 v[43:44], v[135:136], v[43:44]
	v_add_f64 v[137:138], v[139:140], v[137:138]
	v_mul_f64 v[139:140], v[198:199], s[20:21]
	scratch_load_b64 v[198:199], off, off offset:1356 ; 8-byte Folded Reload
	v_add_f64 v[43:44], v[133:134], v[43:44]
	v_add_f64 v[139:140], v[141:142], v[139:140]
	;; [unrolled: 4-line block ×3, first 2 shown]
	v_mul_f64 v[143:144], v[166:167], s[16:17]
	scratch_load_b64 v[166:167], off, off offset:1416 ; 8-byte Folded Reload
	v_add_f64 v[10:11], v[141:142], v[10:11]
	v_add_f64 v[143:144], v[143:144], -v[145:146]
	v_mul_f64 v[145:146], v[182:183], s[20:21]
	scratch_load_b64 v[182:183], off, off offset:944 ; 8-byte Folded Reload
	v_add_f64 v[10:11], v[139:140], v[10:11]
	v_add_f64 v[8:9], v[143:144], v[8:9]
	v_add_f64 v[145:146], v[145:146], -v[147:148]
	v_mul_f64 v[147:148], v[190:191], s[24:25]
	scratch_load_b64 v[190:191], off, off offset:728 ; 8-byte Folded Reload
	v_add_f64 v[10:11], v[137:138], v[10:11]
	v_add_f64 v[8:9], v[145:146], v[8:9]
	v_add_f64 v[147:148], v[147:148], -v[152:153]
	v_mul_f64 v[152:153], v[202:203], s[14:15]
	s_delay_alu instid0(VALU_DEP_2) | instskip(NEXT) | instid1(VALU_DEP_2)
	v_add_f64 v[8:9], v[147:148], v[8:9]
	v_add_f64 v[152:153], v[156:157], v[152:153]
	v_mul_f64 v[156:157], v[194:195], s[14:15]
	s_delay_alu instid0(VALU_DEP_2) | instskip(NEXT) | instid1(VALU_DEP_2)
	v_add_f64 v[37:38], v[152:153], v[41:42]
	v_add_f64 v[156:157], v[156:157], -v[160:161]
	v_mul_f64 v[160:161], v[202:203], s[22:23]
	scratch_load_b64 v[202:203], off, off offset:1228 ; 8-byte Folded Reload
	v_add_f64 v[41:42], v[156:157], v[43:44]
	v_add_f64 v[160:161], v[162:163], v[160:161]
	v_mul_f64 v[162:163], v[194:195], s[22:23]
	scratch_load_b64 v[194:195], off, off offset:1496 ; 8-byte Folded Reload
	v_mul_f64 v[43:44], v[154:155], s[2:3]
	v_add_f64 v[10:11], v[160:161], v[10:11]
	v_add_f64 v[162:163], v[162:163], -v[164:165]
	v_mul_f64 v[164:165], v[186:187], s[16:17]
	s_delay_alu instid0(VALU_DEP_2) | instskip(SKIP_1) | instid1(VALU_DEP_2)
	v_add_f64 v[8:9], v[162:163], v[8:9]
	s_waitcnt vmcnt(4)
	v_add_f64 v[164:165], v[166:167], v[164:165]
	v_mul_f64 v[166:167], v[172:173], s[16:17]
	s_delay_alu instid0(VALU_DEP_2) | instskip(NEXT) | instid1(VALU_DEP_2)
	v_add_f64 v[20:21], v[164:165], v[22:23]
	v_add_f64 v[166:167], v[166:167], -v[170:171]
	v_mul_f64 v[170:171], v[186:187], s[24:25]
	s_delay_alu instid0(VALU_DEP_2) | instskip(NEXT) | instid1(VALU_DEP_2)
	v_add_f64 v[22:23], v[166:167], v[25:26]
	v_add_f64 v[170:171], v[174:175], v[170:171]
	v_mul_f64 v[174:175], v[172:173], s[24:25]
	s_delay_alu instid0(VALU_DEP_2) | instskip(NEXT) | instid1(VALU_DEP_2)
	v_add_f64 v[25:26], v[170:171], v[27:28]
	v_add_f64 v[174:175], v[174:175], -v[176:177]
	v_mul_f64 v[176:177], v[186:187], s[14:15]
	s_delay_alu instid0(VALU_DEP_2) | instskip(NEXT) | instid1(VALU_DEP_2)
	v_add_f64 v[31:32], v[174:175], v[31:32]
	v_add_f64 v[176:177], v[178:179], v[176:177]
	v_mul_f64 v[178:179], v[172:173], s[14:15]
	s_delay_alu instid0(VALU_DEP_2) | instskip(NEXT) | instid1(VALU_DEP_2)
	v_add_f64 v[27:28], v[176:177], v[29:30]
	v_add_f64 v[178:179], v[178:179], -v[180:181]
	v_mul_f64 v[180:181], v[186:187], s[8:9]
	s_delay_alu instid0(VALU_DEP_2) | instskip(SKIP_1) | instid1(VALU_DEP_2)
	v_add_f64 v[35:36], v[178:179], v[35:36]
	s_waitcnt vmcnt(3)
	v_add_f64 v[180:181], v[182:183], v[180:181]
	v_mul_f64 v[182:183], v[172:173], s[8:9]
	s_delay_alu instid0(VALU_DEP_2) | instskip(NEXT) | instid1(VALU_DEP_2)
	v_add_f64 v[29:30], v[180:181], v[33:34]
	v_add_f64 v[182:183], v[182:183], -v[184:185]
	v_mul_f64 v[184:185], v[186:187], s[22:23]
	v_mul_f64 v[186:187], v[186:187], s[18:19]
	s_delay_alu instid0(VALU_DEP_3) | instskip(NEXT) | instid1(VALU_DEP_3)
	v_add_f64 v[39:40], v[182:183], v[39:40]
	v_add_f64 v[184:185], v[188:189], v[184:185]
	v_mul_f64 v[188:189], v[172:173], s[22:23]
	v_mul_f64 v[172:173], v[172:173], s[18:19]
	s_delay_alu instid0(VALU_DEP_3) | instskip(SKIP_1) | instid1(VALU_DEP_3)
	v_add_f64 v[33:34], v[184:185], v[37:38]
	s_waitcnt vmcnt(2)
	v_add_f64 v[188:189], v[188:189], -v[190:191]
	scratch_load_b64 v[190:191], off, off offset:600 ; 8-byte Folded Reload
	v_add_f64 v[37:38], v[188:189], v[41:42]
	v_mul_f64 v[41:42], v[150:151], s[2:3]
	s_waitcnt vmcnt(0)
	v_add_f64 v[186:187], v[190:191], v[186:187]
	scratch_load_b64 v[190:191], off, off offset:536 ; 8-byte Folded Reload
	v_add_f64 v[10:11], v[186:187], v[10:11]
	s_waitcnt vmcnt(0)
	v_add_f64 v[172:173], v[172:173], -v[190:191]
	v_mul_f64 v[190:191], v[168:169], s[16:17]
	s_delay_alu instid0(VALU_DEP_2) | instskip(NEXT) | instid1(VALU_DEP_2)
	v_add_f64 v[8:9], v[172:173], v[8:9]
	v_add_f64 v[190:191], v[192:193], v[190:191]
	v_mul_f64 v[192:193], v[158:159], s[16:17]
	s_delay_alu instid0(VALU_DEP_2) | instskip(NEXT) | instid1(VALU_DEP_2)
	v_add_f64 v[16:17], v[190:191], v[16:17]
	v_add_f64 v[192:193], v[192:193], -v[194:195]
	v_mul_f64 v[194:195], v[168:169], s[2:3]
	s_delay_alu instid0(VALU_DEP_2) | instskip(NEXT) | instid1(VALU_DEP_2)
	v_add_f64 v[18:19], v[192:193], v[18:19]
	v_add_f64 v[194:195], v[196:197], v[194:195]
	v_mul_f64 v[196:197], v[158:159], s[2:3]
	s_delay_alu instid0(VALU_DEP_2) | instskip(NEXT) | instid1(VALU_DEP_2)
	v_add_f64 v[20:21], v[194:195], v[20:21]
	;; [unrolled: 8-line block ×5, first 2 shown]
	v_add_f64 v[208:209], v[208:209], -v[210:211]
	v_mul_f64 v[210:211], v[168:169], s[20:21]
	v_mul_f64 v[168:169], v[168:169], s[14:15]
	s_delay_alu instid0(VALU_DEP_3) | instskip(NEXT) | instid1(VALU_DEP_3)
	v_add_f64 v[39:40], v[208:209], v[39:40]
	v_add_f64 v[210:211], v[212:213], v[210:211]
	v_mul_f64 v[212:213], v[158:159], s[20:21]
	v_mul_f64 v[158:159], v[158:159], s[14:15]
	s_delay_alu instid0(VALU_DEP_3) | instskip(NEXT) | instid1(VALU_DEP_3)
	v_add_f64 v[33:34], v[210:211], v[33:34]
	v_add_f64 v[212:213], v[212:213], -v[214:215]
	scratch_load_b64 v[214:215], off, off offset:520 ; 8-byte Folded Reload
	v_add_f64 v[37:38], v[212:213], v[37:38]
	s_waitcnt vmcnt(0)
	v_add_f64 v[168:169], v[214:215], v[168:169]
	scratch_load_b64 v[214:215], off, off offset:472 ; 8-byte Folded Reload
	s_waitcnt vmcnt(0)
	v_add_f64 v[158:159], v[158:159], -v[214:215]
	v_mul_f64 v[214:215], v[154:155], s[22:23]
	s_delay_alu instid0(VALU_DEP_1) | instskip(SKIP_1) | instid1(VALU_DEP_2)
	v_add_f64 v[214:215], v[216:217], v[214:215]
	v_mul_f64 v[216:217], v[150:151], s[22:23]
	v_add_f64 v[6:7], v[214:215], v[16:17]
	s_delay_alu instid0(VALU_DEP_2) | instskip(SKIP_1) | instid1(VALU_DEP_2)
	v_add_f64 v[216:217], v[216:217], -v[218:219]
	v_mul_f64 v[218:219], v[154:155], s[20:21]
	v_add_f64 v[4:5], v[216:217], v[18:19]
	s_delay_alu instid0(VALU_DEP_2) | instskip(SKIP_1) | instid1(VALU_DEP_1)
	v_add_f64 v[218:219], v[220:221], v[218:219]
	v_mul_f64 v[220:221], v[150:151], s[20:21]
	v_add_f64 v[220:221], v[220:221], -v[222:223]
	v_mul_f64 v[222:223], v[154:155], s[18:19]
	s_delay_alu instid0(VALU_DEP_1) | instskip(SKIP_1) | instid1(VALU_DEP_2)
	v_add_f64 v[222:223], v[227:228], v[222:223]
	v_mul_f64 v[228:229], v[150:151], s[18:19]
	v_add_f64 v[14:15], v[222:223], v[25:26]
	s_delay_alu instid0(VALU_DEP_2) | instskip(SKIP_2) | instid1(VALU_DEP_3)
	v_add_f64 v[228:229], v[228:229], -v[230:231]
	v_mul_f64 v[230:231], v[154:155], s[16:17]
	v_add_f64 v[25:26], v[45:46], v[37:38]
	v_add_f64 v[12:13], v[228:229], v[31:32]
	s_delay_alu instid0(VALU_DEP_3) | instskip(SKIP_1) | instid1(VALU_DEP_2)
	v_add_f64 v[230:231], v[232:233], v[230:231]
	v_mul_f64 v[232:233], v[150:151], s[16:17]
	v_add_f64 v[18:19], v[230:231], v[27:28]
	s_delay_alu instid0(VALU_DEP_2) | instskip(SKIP_3) | instid1(VALU_DEP_2)
	v_add_f64 v[232:233], v[232:233], -v[234:235]
	v_add_f64 v[27:28], v[47:48], v[33:34]
	v_mul_u32_u24_e32 v33, 17, v24
	v_mul_f64 v[234:235], v[154:155], s[14:15]
	v_lshl_add_u32 v33, v33, 4, v226
	v_add_f64 v[16:17], v[232:233], v[35:36]
	scratch_load_b128 v[34:37], off, off offset:128 ; 16-byte Folded Reload
	s_waitcnt vmcnt(0)
	ds_store_b128 v33, v[34:37] offset:128
	scratch_load_b128 v[34:37], off, off offset:144 ; 16-byte Folded Reload
	s_waitcnt vmcnt(0)
	ds_store_b128 v33, v[34:37] offset:144
	;; [unrolled: 3-line block ×4, first 2 shown]
	scratch_load_b128 v[34:37], off, off offset:80 ; 16-byte Folded Reload
	v_add_f64 v[234:235], v[236:237], v[234:235]
	s_waitcnt vmcnt(0)
	ds_store_b128 v33, v[34:37] offset:192
	scratch_load_b128 v[34:37], off, off offset:64 ; 16-byte Folded Reload
	v_add_f64 v[49:50], v[49:50], -v[59:60]
	s_waitcnt vmcnt(0)
	ds_store_b128 v33, v[34:37] offset:208
	scratch_load_b128 v[34:37], off, off offset:48 ; 16-byte Folded Reload
	v_add_f64 v[43:44], v[53:54], v[43:44]
	v_add_f64 v[53:54], v[158:159], v[8:9]
	v_add_f64 v[8:9], v[220:221], v[22:23]
	v_add_f64 v[22:23], v[234:235], v[29:30]
	s_waitcnt vmcnt(0)
	ds_store_b128 v33, v[34:37] offset:224
	scratch_load_b128 v[34:37], off, off offset:32 ; 16-byte Folded Reload
	v_add_f64 v[41:42], v[41:42], -v[51:52]
	v_add_f64 v[51:52], v[168:169], v[10:11]
	v_add_f64 v[10:11], v[218:219], v[20:21]
	;; [unrolled: 1-line block ×3, first 2 shown]
	s_delay_alu instid0(VALU_DEP_4) | instskip(NEXT) | instid1(VALU_DEP_4)
	v_add_f64 v[29:30], v[41:42], v[53:54]
	v_add_f64 v[31:32], v[43:44], v[51:52]
	s_waitcnt vmcnt(0)
	ds_store_b128 v33, v[34:37] offset:240
	ds_store_b128 v33, v[25:28] offset:32
	;; [unrolled: 1-line block ×8, first 2 shown]
	ds_store_b128 v33, v[0:3]
	scratch_load_b128 v[0:3], off, off offset:16 ; 16-byte Folded Reload
	s_waitcnt vmcnt(0)
	ds_store_b128 v33, v[0:3] offset:256
.LBB0_7:
	s_or_b32 exec_lo, exec_lo, s26
	scratch_load_b32 v72, off, off          ; 4-byte Folded Reload
	s_waitcnt vmcnt(0) lgkmcnt(0)
	s_waitcnt_vscnt null, 0x0
	s_barrier
	buffer_gl0_inv
	s_mov_b32 s14, 0x134454ff
	s_mov_b32 s15, 0x3fee6f0e
	;; [unrolled: 1-line block ×10, first 2 shown]
	v_lshlrev_b32_e32 v17, 6, v72
	v_add_co_u32 v16, null, v72, 34
	v_add_co_u32 v18, null, v72, 51
	s_clause 0x3
	global_load_b128 v[100:103], v17, s[0:1]
	global_load_b128 v[88:91], v17, s[0:1] offset:16
	global_load_b128 v[84:87], v17, s[0:1] offset:32
	;; [unrolled: 1-line block ×3, first 2 shown]
	v_and_b32_e32 v0, 0xff, v16
	v_and_b32_e32 v45, 0xff, v18
	s_delay_alu instid0(VALU_DEP_2) | instskip(NEXT) | instid1(VALU_DEP_2)
	v_mul_lo_u16 v0, 0xf1, v0
	v_mul_lo_u16 v69, 0xf1, v45
	s_delay_alu instid0(VALU_DEP_2) | instskip(NEXT) | instid1(VALU_DEP_2)
	v_lshrrev_b16 v0, 12, v0
	v_lshrrev_b16 v71, 12, v69
	s_delay_alu instid0(VALU_DEP_2) | instskip(NEXT) | instid1(VALU_DEP_1)
	v_mul_lo_u16 v0, v0, 17
	v_sub_nc_u16 v19, v16, v0
	s_delay_alu instid0(VALU_DEP_1) | instskip(NEXT) | instid1(VALU_DEP_1)
	v_lshlrev_b16 v0, 2, v19
	v_and_b32_e32 v0, 0xfc, v0
	s_delay_alu instid0(VALU_DEP_1)
	v_lshlrev_b32_e32 v0, 4, v0
	s_clause 0x3
	global_load_b128 v[104:107], v0, s[0:1]
	global_load_b128 v[118:121], v0, s[0:1] offset:16
	global_load_b128 v[114:117], v0, s[0:1] offset:32
	;; [unrolled: 1-line block ×3, first 2 shown]
	ds_load_b128 v[8:11], v224 offset:1360
	ds_load_b128 v[4:7], v224 offset:2720
	;; [unrolled: 1-line block ×12, first 2 shown]
	s_waitcnt vmcnt(7) lgkmcnt(11)
	v_mul_f64 v[53:54], v[10:11], v[102:103]
	s_waitcnt vmcnt(6) lgkmcnt(10)
	v_mul_f64 v[57:58], v[6:7], v[90:91]
	;; [unrolled: 2-line block ×3, first 2 shown]
	v_mul_f64 v[98:99], v[37:38], v[82:83]
	v_mul_f64 v[59:60], v[4:5], v[90:91]
	;; [unrolled: 1-line block ×12, first 2 shown]
	s_clause 0x3
	scratch_store_b128 off, v[100:103], off offset:520
	scratch_store_b128 off, v[88:91], off offset:504
	;; [unrolled: 1-line block ×4, first 2 shown]
	v_fma_f64 v[53:54], v[8:9], v[100:101], -v[53:54]
	v_fma_f64 v[57:58], v[4:5], v[88:89], -v[57:58]
	v_mul_lo_u16 v4, v71, 17
	v_fma_f64 v[96:97], v[37:38], v[80:81], -v[96:97]
	v_fma_f64 v[98:99], v[39:40], v[80:81], v[98:99]
	v_fma_f64 v[61:62], v[0:1], v[84:85], -v[61:62]
	v_fma_f64 v[63:64], v[2:3], v[84:85], v[63:64]
	v_sub_nc_u16 v5, v18, v4
	ds_load_b128 v[0:3], v224 offset:3264
	v_fma_f64 v[10:11], v[10:11], v[100:101], v[55:56]
	v_mul_f64 v[55:56], v[33:34], v[86:87]
	v_fma_f64 v[59:60], v[6:7], v[88:89], v[59:60]
	ds_load_b128 v[6:9], v224 offset:3536
	v_lshlrev_b16 v4, 2, v5
	v_fma_f64 v[76:77], v[31:32], v[100:101], v[76:77]
	v_fma_f64 v[94:95], v[33:34], v[84:85], -v[94:95]
	s_waitcnt vmcnt(1) lgkmcnt(2)
	v_mul_f64 v[33:34], v[51:52], v[116:117]
	v_fma_f64 v[65:66], v[25:26], v[80:81], -v[65:66]
	v_and_b32_e32 v4, 0xfc, v4
	v_fma_f64 v[67:68], v[27:28], v[80:81], v[67:68]
	v_mul_f64 v[25:26], v[47:48], v[106:107]
	v_mul_f64 v[27:28], v[45:46], v[106:107]
	s_clause 0x1
	scratch_store_b128 off, v[104:107], off offset:600
	scratch_store_b128 off, v[118:121], off offset:584
	v_lshlrev_b32_e32 v4, 4, v4
	v_fma_f64 v[69:70], v[29:30], v[100:101], -v[69:70]
	v_fma_f64 v[78:79], v[20:21], v[88:89], -v[78:79]
	v_fma_f64 v[92:93], v[22:23], v[88:89], v[92:93]
	s_waitcnt lgkmcnt(1)
	v_mul_f64 v[31:32], v[0:1], v[120:121]
	global_load_b128 v[37:40], v4, s[0:1]
	v_mul_f64 v[29:30], v[2:3], v[120:121]
	ds_load_b128 v[20:23], v224 offset:5984
	scratch_store_b128 off, v[114:117], off offset:568 ; 16-byte Folded Spill
	s_waitcnt vmcnt(1)
	scratch_store_b128 off, v[108:111], off offset:552 ; 16-byte Folded Spill
	v_fma_f64 v[55:56], v[35:36], v[84:85], v[55:56]
	v_mul_f64 v[35:36], v[49:50], v[116:117]
	v_fma_f64 v[112:113], v[49:50], v[114:115], -v[33:34]
	v_fma_f64 v[100:101], v[45:46], v[104:105], -v[25:26]
	v_fma_f64 v[102:103], v[47:48], v[104:105], v[27:28]
	v_add_f64 v[45:46], v[63:64], -v[67:68]
	v_fma_f64 v[106:107], v[2:3], v[118:119], v[31:32]
	global_load_b128 v[31:34], v4, s[0:1] offset:16
	v_fma_f64 v[104:105], v[0:1], v[118:119], -v[29:30]
	ds_load_b128 v[0:3], v224 offset:6256
	s_waitcnt lgkmcnt(1)
	v_mul_f64 v[25:26], v[22:23], v[110:111]
	v_mul_f64 v[27:28], v[20:21], v[110:111]
	v_add_f64 v[49:50], v[92:93], -v[55:56]
	v_fma_f64 v[114:115], v[51:52], v[114:115], v[35:36]
	v_add_f64 v[51:52], v[69:70], -v[96:97]
	v_fma_f64 v[116:117], v[20:21], v[108:109], -v[25:26]
	v_fma_f64 v[118:119], v[22:23], v[108:109], v[27:28]
	ds_load_b128 v[20:23], v224 offset:2176
	ds_load_b128 v[25:28], v224 offset:2448
	s_waitcnt vmcnt(1) lgkmcnt(1)
	v_mul_f64 v[29:30], v[22:23], v[39:40]
	scratch_store_b128 off, v[37:40], off offset:928 ; 16-byte Folded Spill
	s_waitcnt vmcnt(0)
	scratch_store_b128 off, v[31:34], off offset:944 ; 16-byte Folded Spill
	v_fma_f64 v[124:125], v[20:21], v[37:38], -v[29:30]
	v_mul_f64 v[20:21], v[20:21], v[39:40]
	v_add_f64 v[39:40], v[57:58], -v[61:62]
	s_delay_alu instid0(VALU_DEP_2) | instskip(SKIP_1) | instid1(VALU_DEP_1)
	v_fma_f64 v[126:127], v[22:23], v[37:38], v[20:21]
	v_mul_f64 v[20:21], v[8:9], v[33:34]
	v_fma_f64 v[128:129], v[6:7], v[31:32], -v[20:21]
	v_mul_f64 v[6:7], v[6:7], v[33:34]
	s_delay_alu instid0(VALU_DEP_1)
	v_fma_f64 v[130:131], v[8:9], v[31:32], v[6:7]
	s_clause 0x1
	global_load_b128 v[35:38], v4, s[0:1] offset:32
	global_load_b128 v[31:34], v4, s[0:1] offset:48
	ds_load_b128 v[6:9], v224 offset:4896
	ds_load_b128 v[20:23], v224 offset:5168
	v_add_co_u32 v4, null, 0x44, v72
	s_waitcnt vmcnt(1) lgkmcnt(1)
	v_mul_f64 v[29:30], v[8:9], v[37:38]
	scratch_store_b128 off, v[35:38], off offset:976 ; 16-byte Folded Spill
	s_waitcnt vmcnt(0)
	scratch_store_b128 off, v[31:34], off offset:960 ; 16-byte Folded Spill
	v_fma_f64 v[132:133], v[6:7], v[35:36], -v[29:30]
	v_mul_f64 v[6:7], v[6:7], v[37:38]
	v_add_f64 v[37:38], v[53:54], -v[65:66]
	s_delay_alu instid0(VALU_DEP_2) | instskip(SKIP_2) | instid1(VALU_DEP_2)
	v_fma_f64 v[134:135], v[8:9], v[35:36], v[6:7]
	v_mul_f64 v[6:7], v[2:3], v[33:34]
	v_add_f64 v[35:36], v[59:60], -v[63:64]
	v_fma_f64 v[136:137], v[0:1], v[31:32], -v[6:7]
	v_mul_f64 v[0:1], v[0:1], v[33:34]
	v_add_f64 v[33:34], v[10:11], -v[67:68]
	s_delay_alu instid0(VALU_DEP_2) | instskip(SKIP_1) | instid1(VALU_DEP_1)
	v_fma_f64 v[138:139], v[2:3], v[31:32], v[0:1]
	v_and_b32_e32 v0, 0xff, v4
	v_mul_lo_u16 v0, 0xf1, v0
	s_delay_alu instid0(VALU_DEP_1) | instskip(NEXT) | instid1(VALU_DEP_1)
	v_lshrrev_b16 v0, 12, v0
	v_mul_lo_u16 v0, v0, 17
	s_delay_alu instid0(VALU_DEP_1) | instskip(NEXT) | instid1(VALU_DEP_1)
	v_sub_nc_u16 v71, v4, v0
	v_lshlrev_b16 v0, 2, v71
	s_delay_alu instid0(VALU_DEP_1) | instskip(NEXT) | instid1(VALU_DEP_1)
	v_and_b32_e32 v0, 0xfc, v0
	v_lshlrev_b32_e32 v2, 4, v0
	s_clause 0x1
	global_load_b128 v[29:32], v2, s[0:1]
	global_load_b128 v[6:9], v2, s[0:1] offset:16
	s_waitcnt vmcnt(1)
	v_mul_f64 v[0:1], v[27:28], v[31:32]
	scratch_store_b128 off, v[29:32], off offset:1024 ; 16-byte Folded Spill
	s_waitcnt vmcnt(0)
	scratch_store_b128 off, v[6:9], off offset:992 ; 16-byte Folded Spill
	v_fma_f64 v[140:141], v[25:26], v[29:30], -v[0:1]
	v_mul_f64 v[0:1], v[25:26], v[31:32]
	s_delay_alu instid0(VALU_DEP_1) | instskip(SKIP_1) | instid1(VALU_DEP_1)
	v_fma_f64 v[142:143], v[27:28], v[29:30], v[0:1]
	v_mul_f64 v[0:1], v[43:44], v[8:9]
	v_fma_f64 v[144:145], v[41:42], v[6:7], -v[0:1]
	v_mul_f64 v[0:1], v[41:42], v[8:9]
	v_add_f64 v[41:42], v[57:58], -v[53:54]
	s_delay_alu instid0(VALU_DEP_2)
	v_fma_f64 v[146:147], v[43:44], v[6:7], v[0:1]
	s_clause 0x1
	global_load_b128 v[6:9], v2, s[0:1] offset:32
	global_load_b128 v[80:83], v2, s[0:1] offset:48
	v_add_f64 v[2:3], v[65:66], -v[61:62]
	v_add_f64 v[43:44], v[61:62], -v[65:66]
	s_waitcnt vmcnt(1) lgkmcnt(0)
	v_mul_f64 v[0:1], v[22:23], v[8:9]
	scratch_store_b128 off, v[6:9], off offset:1040 ; 16-byte Folded Spill
	v_fma_f64 v[148:149], v[20:21], v[6:7], -v[0:1]
	v_mul_f64 v[0:1], v[20:21], v[8:9]
	v_add_f64 v[20:21], v[57:58], v[61:62]
	s_delay_alu instid0(VALU_DEP_2) | instskip(SKIP_1) | instid1(VALU_DEP_1)
	v_fma_f64 v[150:151], v[22:23], v[6:7], v[0:1]
	v_add_f64 v[0:1], v[53:54], -v[57:58]
	v_add_f64 v[25:26], v[0:1], v[2:3]
	v_add_f64 v[0:1], v[10:11], -v[59:60]
	v_add_f64 v[2:3], v[67:68], -v[63:64]
	s_delay_alu instid0(VALU_DEP_1)
	v_add_f64 v[27:28], v[0:1], v[2:3]
	ds_load_b128 v[0:3], v224
	ds_load_b128 v[6:9], v224 offset:272
	s_waitcnt vmcnt(0)
	scratch_store_b128 off, v[80:83], off offset:1008 ; 16-byte Folded Spill
	s_waitcnt lgkmcnt(1)
	v_fma_f64 v[29:30], v[20:21], -0.5, v[0:1]
	v_add_f64 v[20:21], v[59:60], v[63:64]
	s_delay_alu instid0(VALU_DEP_1) | instskip(NEXT) | instid1(VALU_DEP_3)
	v_fma_f64 v[31:32], v[20:21], -0.5, v[2:3]
	v_fma_f64 v[20:21], v[33:34], s[14:15], v[29:30]
	v_fma_f64 v[29:30], v[33:34], s[16:17], v[29:30]
	s_delay_alu instid0(VALU_DEP_3) | instskip(SKIP_1) | instid1(VALU_DEP_4)
	v_fma_f64 v[22:23], v[37:38], s[16:17], v[31:32]
	v_fma_f64 v[31:32], v[37:38], s[14:15], v[31:32]
	;; [unrolled: 1-line block ×3, first 2 shown]
	s_delay_alu instid0(VALU_DEP_4) | instskip(NEXT) | instid1(VALU_DEP_4)
	v_fma_f64 v[29:30], v[35:36], s[8:9], v[29:30]
	v_fma_f64 v[22:23], v[39:40], s[8:9], v[22:23]
	s_delay_alu instid0(VALU_DEP_4) | instskip(NEXT) | instid1(VALU_DEP_4)
	v_fma_f64 v[31:32], v[39:40], s[2:3], v[31:32]
	v_fma_f64 v[20:21], v[25:26], s[18:19], v[20:21]
	s_delay_alu instid0(VALU_DEP_4) | instskip(SKIP_4) | instid1(VALU_DEP_4)
	v_fma_f64 v[25:26], v[25:26], s[18:19], v[29:30]
	v_add_f64 v[29:30], v[53:54], v[65:66]
	v_fma_f64 v[22:23], v[27:28], s[18:19], v[22:23]
	v_fma_f64 v[27:28], v[27:28], s[18:19], v[31:32]
	v_add_f64 v[31:32], v[10:11], v[67:68]
	v_fma_f64 v[29:30], v[29:30], -0.5, v[0:1]
	v_add_f64 v[0:1], v[0:1], v[53:54]
	v_add_f64 v[53:54], v[78:79], -v[94:95]
	s_delay_alu instid0(VALU_DEP_4)
	v_fma_f64 v[31:32], v[31:32], -0.5, v[2:3]
	v_add_f64 v[2:3], v[2:3], v[10:11]
	v_add_f64 v[10:11], v[59:60], -v[10:11]
	v_fma_f64 v[47:48], v[35:36], s[16:17], v[29:30]
	v_fma_f64 v[29:30], v[35:36], s[14:15], v[29:30]
	v_add_f64 v[0:1], v[0:1], v[57:58]
	v_add_f64 v[57:58], v[78:79], -v[69:70]
	v_fma_f64 v[35:36], v[39:40], s[14:15], v[31:32]
	v_fma_f64 v[31:32], v[39:40], s[16:17], v[31:32]
	v_add_f64 v[10:11], v[10:11], v[45:46]
	v_add_f64 v[39:40], v[41:42], v[43:44]
	v_fma_f64 v[41:42], v[33:34], s[2:3], v[47:48]
	v_fma_f64 v[33:34], v[33:34], s[8:9], v[29:30]
	v_add_f64 v[47:48], v[76:77], -v[98:99]
	v_add_f64 v[2:3], v[2:3], v[59:60]
	v_add_f64 v[0:1], v[0:1], v[61:62]
	v_add_f64 v[59:60], v[92:93], -v[76:77]
	v_add_f64 v[61:62], v[94:95], -v[96:97]
	v_fma_f64 v[35:36], v[37:38], s[8:9], v[35:36]
	v_fma_f64 v[37:38], v[37:38], s[2:3], v[31:32]
	;; [unrolled: 1-line block ×4, first 2 shown]
	v_add_f64 v[39:40], v[98:99], -v[55:56]
	v_add_f64 v[2:3], v[2:3], v[63:64]
	v_add_f64 v[0:1], v[0:1], v[65:66]
	v_add_f64 v[65:66], v[134:135], -v[138:139]
	v_fma_f64 v[31:32], v[10:11], s[18:19], v[35:36]
	v_fma_f64 v[35:36], v[10:11], s[18:19], v[37:38]
	v_add_f64 v[10:11], v[69:70], -v[78:79]
	v_add_f64 v[37:38], v[96:97], -v[94:95]
	v_add_f64 v[2:3], v[2:3], v[67:68]
	s_delay_alu instid0(VALU_DEP_2) | instskip(SKIP_1) | instid1(VALU_DEP_1)
	v_add_f64 v[10:11], v[10:11], v[37:38]
	v_add_f64 v[37:38], v[76:77], -v[92:93]
	v_add_f64 v[43:44], v[37:38], v[39:40]
	v_add_f64 v[37:38], v[78:79], v[94:95]
	s_waitcnt lgkmcnt(0)
	s_delay_alu instid0(VALU_DEP_1) | instskip(SKIP_1) | instid1(VALU_DEP_1)
	v_fma_f64 v[41:42], v[37:38], -0.5, v[6:7]
	v_add_f64 v[37:38], v[92:93], v[55:56]
	v_fma_f64 v[45:46], v[37:38], -0.5, v[8:9]
	s_delay_alu instid0(VALU_DEP_3) | instskip(SKIP_1) | instid1(VALU_DEP_3)
	v_fma_f64 v[37:38], v[47:48], s[14:15], v[41:42]
	v_fma_f64 v[41:42], v[47:48], s[16:17], v[41:42]
	;; [unrolled: 1-line block ×4, first 2 shown]
	s_delay_alu instid0(VALU_DEP_4) | instskip(NEXT) | instid1(VALU_DEP_4)
	v_fma_f64 v[37:38], v[49:50], s[2:3], v[37:38]
	v_fma_f64 v[41:42], v[49:50], s[8:9], v[41:42]
	s_delay_alu instid0(VALU_DEP_4) | instskip(NEXT) | instid1(VALU_DEP_4)
	v_fma_f64 v[39:40], v[53:54], s[8:9], v[39:40]
	v_fma_f64 v[45:46], v[53:54], s[2:3], v[45:46]
	;; [unrolled: 3-line block ×3, first 2 shown]
	v_add_f64 v[10:11], v[69:70], v[96:97]
	v_fma_f64 v[39:40], v[43:44], s[18:19], v[39:40]
	v_fma_f64 v[43:44], v[43:44], s[18:19], v[45:46]
	v_add_f64 v[45:46], v[76:77], v[98:99]
	s_delay_alu instid0(VALU_DEP_4) | instskip(SKIP_1) | instid1(VALU_DEP_3)
	v_fma_f64 v[10:11], v[10:11], -0.5, v[6:7]
	v_add_f64 v[6:7], v[6:7], v[69:70]
	v_fma_f64 v[45:46], v[45:46], -0.5, v[8:9]
	v_add_f64 v[8:9], v[8:9], v[76:77]
	s_delay_alu instid0(VALU_DEP_4)
	v_fma_f64 v[63:64], v[49:50], s[16:17], v[10:11]
	v_fma_f64 v[10:11], v[49:50], s[14:15], v[10:11]
	v_add_f64 v[6:7], v[6:7], v[78:79]
	v_add_f64 v[76:77], v[144:145], -v[148:149]
	v_fma_f64 v[49:50], v[53:54], s[14:15], v[45:46]
	v_add_f64 v[8:9], v[8:9], v[92:93]
	v_fma_f64 v[45:46], v[53:54], s[16:17], v[45:46]
	v_add_f64 v[53:54], v[57:58], v[61:62]
	v_fma_f64 v[57:58], v[47:48], s[2:3], v[63:64]
	v_fma_f64 v[10:11], v[47:48], s[8:9], v[10:11]
	v_add_f64 v[6:7], v[6:7], v[94:95]
	v_add_f64 v[63:64], v[132:133], -v[136:137]
	v_add_f64 v[92:93], v[140:141], -v[144:145]
	;; [unrolled: 1-line block ×3, first 2 shown]
	v_fma_f64 v[47:48], v[51:52], s[8:9], v[49:50]
	v_add_f64 v[8:9], v[8:9], v[55:56]
	v_add_f64 v[55:56], v[55:56], -v[98:99]
	v_fma_f64 v[51:52], v[51:52], s[2:3], v[45:46]
	v_fma_f64 v[45:46], v[53:54], s[18:19], v[57:58]
	;; [unrolled: 1-line block ×3, first 2 shown]
	v_add_f64 v[6:7], v[6:7], v[96:97]
	v_add_f64 v[8:9], v[8:9], v[98:99]
	;; [unrolled: 1-line block ×3, first 2 shown]
	s_delay_alu instid0(VALU_DEP_1) | instskip(SKIP_4) | instid1(VALU_DEP_1)
	v_fma_f64 v[47:48], v[55:56], s[18:19], v[47:48]
	v_fma_f64 v[51:52], v[55:56], s[18:19], v[51:52]
	ds_load_b128 v[53:56], v224 offset:6528
	s_waitcnt lgkmcnt(0)
	v_mul_f64 v[10:11], v[55:56], v[82:83]
	v_fma_f64 v[10:11], v[53:54], v[80:81], -v[10:11]
	v_mul_f64 v[53:54], v[53:54], v[82:83]
	s_delay_alu instid0(VALU_DEP_2) | instskip(NEXT) | instid1(VALU_DEP_2)
	v_add_f64 v[78:79], v[140:141], -v[10:11]
	v_fma_f64 v[61:62], v[55:56], v[80:81], v[53:54]
	ds_load_b128 v[53:56], v224 offset:544
	ds_load_b128 v[57:60], v224 offset:816
	s_waitcnt lgkmcnt(0)
	s_waitcnt_vscnt null, 0x0
	s_barrier
	buffer_gl0_inv
	ds_store_b128 v224, v[0:3]
	ds_store_b128 v224, v[20:23] offset:272
	ds_store_b128 v224, v[29:32] offset:544
	;; [unrolled: 1-line block ×9, first 2 shown]
	v_add_f64 v[0:1], v[100:101], -v[104:105]
	v_add_f64 v[2:3], v[116:117], -v[112:113]
	;; [unrolled: 1-line block ×15, first 2 shown]
	v_add_f64 v[6:7], v[0:1], v[2:3]
	v_add_f64 v[0:1], v[102:103], -v[106:107]
	v_add_f64 v[2:3], v[118:119], -v[114:115]
	s_delay_alu instid0(VALU_DEP_1) | instskip(SKIP_1) | instid1(VALU_DEP_1)
	v_add_f64 v[8:9], v[0:1], v[2:3]
	v_add_f64 v[0:1], v[104:105], v[112:113]
	v_fma_f64 v[20:21], v[0:1], -0.5, v[53:54]
	v_add_f64 v[0:1], v[106:107], v[114:115]
	s_delay_alu instid0(VALU_DEP_1) | instskip(NEXT) | instid1(VALU_DEP_3)
	v_fma_f64 v[22:23], v[0:1], -0.5, v[55:56]
	v_fma_f64 v[0:1], v[25:26], s[14:15], v[20:21]
	v_fma_f64 v[20:21], v[25:26], s[16:17], v[20:21]
	s_delay_alu instid0(VALU_DEP_3) | instskip(NEXT) | instid1(VALU_DEP_3)
	v_fma_f64 v[2:3], v[29:30], s[16:17], v[22:23]
	v_fma_f64 v[0:1], v[27:28], s[2:3], v[0:1]
	s_delay_alu instid0(VALU_DEP_3) | instskip(SKIP_1) | instid1(VALU_DEP_4)
	v_fma_f64 v[20:21], v[27:28], s[8:9], v[20:21]
	v_fma_f64 v[22:23], v[29:30], s[14:15], v[22:23]
	;; [unrolled: 1-line block ×3, first 2 shown]
	s_delay_alu instid0(VALU_DEP_4) | instskip(NEXT) | instid1(VALU_DEP_4)
	v_fma_f64 v[0:1], v[6:7], s[18:19], v[0:1]
	v_fma_f64 v[6:7], v[6:7], s[18:19], v[20:21]
	v_add_f64 v[20:21], v[100:101], v[116:117]
	v_fma_f64 v[22:23], v[31:32], s[2:3], v[22:23]
	v_fma_f64 v[2:3], v[8:9], s[18:19], v[2:3]
	s_delay_alu instid0(VALU_DEP_3) | instskip(SKIP_1) | instid1(VALU_DEP_4)
	v_fma_f64 v[33:34], v[20:21], -0.5, v[53:54]
	v_add_f64 v[20:21], v[102:103], v[118:119]
	v_fma_f64 v[8:9], v[8:9], s[18:19], v[22:23]
	v_add_f64 v[22:23], v[55:56], v[102:103]
	s_delay_alu instid0(VALU_DEP_4) | instskip(NEXT) | instid1(VALU_DEP_4)
	v_fma_f64 v[45:46], v[27:28], s[16:17], v[33:34]
	v_fma_f64 v[35:36], v[20:21], -0.5, v[55:56]
	v_fma_f64 v[27:28], v[27:28], s[14:15], v[33:34]
	v_add_f64 v[20:21], v[53:54], v[100:101]
	v_add_f64 v[22:23], v[22:23], v[106:107]
	s_delay_alu instid0(VALU_DEP_4)
	v_fma_f64 v[33:34], v[31:32], s[14:15], v[35:36]
	v_fma_f64 v[31:32], v[31:32], s[16:17], v[35:36]
	v_add_f64 v[35:36], v[37:38], v[41:42]
	v_add_f64 v[37:38], v[39:40], v[43:44]
	v_fma_f64 v[39:40], v[25:26], s[2:3], v[45:46]
	v_fma_f64 v[41:42], v[25:26], s[8:9], v[27:28]
	v_add_f64 v[45:46], v[126:127], -v[138:139]
	v_add_f64 v[20:21], v[20:21], v[104:105]
	v_add_f64 v[22:23], v[22:23], v[114:115]
	v_fma_f64 v[27:28], v[29:30], s[8:9], v[33:34]
	v_fma_f64 v[31:32], v[29:30], s[2:3], v[31:32]
	v_add_f64 v[33:34], v[124:125], -v[128:129]
	v_fma_f64 v[25:26], v[35:36], s[18:19], v[39:40]
	v_fma_f64 v[29:30], v[35:36], s[18:19], v[41:42]
	v_add_f64 v[35:36], v[136:137], -v[132:133]
	v_add_f64 v[20:21], v[20:21], v[112:113]
	v_add_f64 v[22:23], v[22:23], v[118:119]
	v_fma_f64 v[27:28], v[37:38], s[18:19], v[27:28]
	v_fma_f64 v[31:32], v[37:38], s[18:19], v[31:32]
	v_add_f64 v[37:38], v[33:34], v[35:36]
	v_add_f64 v[33:34], v[126:127], -v[130:131]
	v_add_f64 v[35:36], v[138:139], -v[134:135]
	v_add_f64 v[20:21], v[20:21], v[116:117]
	s_delay_alu instid0(VALU_DEP_2) | instskip(SKIP_1) | instid1(VALU_DEP_1)
	v_add_f64 v[39:40], v[33:34], v[35:36]
	v_add_f64 v[33:34], v[128:129], v[132:133]
	v_fma_f64 v[41:42], v[33:34], -0.5, v[57:58]
	v_add_f64 v[33:34], v[130:131], v[134:135]
	s_delay_alu instid0(VALU_DEP_1) | instskip(NEXT) | instid1(VALU_DEP_3)
	v_fma_f64 v[43:44], v[33:34], -0.5, v[59:60]
	v_fma_f64 v[33:34], v[45:46], s[14:15], v[41:42]
	v_fma_f64 v[41:42], v[45:46], s[16:17], v[41:42]
	s_delay_alu instid0(VALU_DEP_3) | instskip(NEXT) | instid1(VALU_DEP_3)
	v_fma_f64 v[35:36], v[49:50], s[16:17], v[43:44]
	v_fma_f64 v[33:34], v[47:48], s[2:3], v[33:34]
	s_delay_alu instid0(VALU_DEP_3) | instskip(SKIP_1) | instid1(VALU_DEP_4)
	v_fma_f64 v[41:42], v[47:48], s[8:9], v[41:42]
	v_fma_f64 v[43:44], v[49:50], s[14:15], v[43:44]
	;; [unrolled: 1-line block ×3, first 2 shown]
	s_delay_alu instid0(VALU_DEP_4) | instskip(NEXT) | instid1(VALU_DEP_4)
	v_fma_f64 v[33:34], v[37:38], s[18:19], v[33:34]
	v_fma_f64 v[37:38], v[37:38], s[18:19], v[41:42]
	v_add_f64 v[41:42], v[124:125], v[136:137]
	v_fma_f64 v[43:44], v[51:52], s[2:3], v[43:44]
	v_fma_f64 v[35:36], v[39:40], s[18:19], v[35:36]
	s_delay_alu instid0(VALU_DEP_3) | instskip(SKIP_1) | instid1(VALU_DEP_4)
	v_fma_f64 v[53:54], v[41:42], -0.5, v[57:58]
	v_add_f64 v[41:42], v[126:127], v[138:139]
	v_fma_f64 v[39:40], v[39:40], s[18:19], v[43:44]
	v_add_f64 v[43:44], v[59:60], v[126:127]
	s_delay_alu instid0(VALU_DEP_4) | instskip(NEXT) | instid1(VALU_DEP_4)
	v_fma_f64 v[67:68], v[47:48], s[16:17], v[53:54]
	v_fma_f64 v[55:56], v[41:42], -0.5, v[59:60]
	v_add_f64 v[41:42], v[57:58], v[124:125]
	v_add_f64 v[57:58], v[128:129], -v[124:125]
	v_add_f64 v[59:60], v[130:131], -v[126:127]
	v_fma_f64 v[47:48], v[47:48], s[14:15], v[53:54]
	v_add_f64 v[43:44], v[43:44], v[130:131]
	v_fma_f64 v[53:54], v[51:52], s[14:15], v[55:56]
	v_fma_f64 v[51:52], v[51:52], s[16:17], v[55:56]
	v_add_f64 v[55:56], v[57:58], v[63:64]
	v_add_f64 v[57:58], v[59:60], v[65:66]
	v_fma_f64 v[59:60], v[45:46], s[2:3], v[67:68]
	v_fma_f64 v[63:64], v[45:46], s[8:9], v[47:48]
	v_add_f64 v[67:68], v[146:147], -v[150:151]
	v_add_f64 v[41:42], v[41:42], v[128:129]
	v_add_f64 v[43:44], v[43:44], v[134:135]
	v_fma_f64 v[47:48], v[49:50], s[8:9], v[53:54]
	v_fma_f64 v[51:52], v[49:50], s[2:3], v[51:52]
	v_add_f64 v[53:54], v[144:145], -v[140:141]
	v_fma_f64 v[45:46], v[55:56], s[18:19], v[59:60]
	v_fma_f64 v[49:50], v[55:56], s[18:19], v[63:64]
	v_add_f64 v[55:56], v[148:149], -v[10:11]
	v_add_f64 v[41:42], v[41:42], v[132:133]
	v_add_f64 v[43:44], v[43:44], v[138:139]
	v_fma_f64 v[47:48], v[57:58], s[18:19], v[47:48]
	v_fma_f64 v[51:52], v[57:58], s[18:19], v[51:52]
	v_add_f64 v[57:58], v[53:54], v[55:56]
	v_add_f64 v[53:54], v[146:147], -v[142:143]
	v_add_f64 v[55:56], v[150:151], -v[61:62]
	v_add_f64 v[41:42], v[41:42], v[136:137]
	s_delay_alu instid0(VALU_DEP_2) | instskip(SKIP_1) | instid1(VALU_DEP_1)
	v_add_f64 v[59:60], v[53:54], v[55:56]
	v_add_f64 v[53:54], v[140:141], v[10:11]
	v_fma_f64 v[63:64], v[53:54], -0.5, v[12:13]
	v_add_f64 v[53:54], v[142:143], v[61:62]
	s_delay_alu instid0(VALU_DEP_1) | instskip(NEXT) | instid1(VALU_DEP_3)
	v_fma_f64 v[65:66], v[53:54], -0.5, v[14:15]
	v_fma_f64 v[53:54], v[67:68], s[16:17], v[63:64]
	v_fma_f64 v[63:64], v[67:68], s[14:15], v[63:64]
	s_delay_alu instid0(VALU_DEP_3) | instskip(SKIP_1) | instid1(VALU_DEP_4)
	v_fma_f64 v[55:56], v[76:77], s[14:15], v[65:66]
	v_fma_f64 v[65:66], v[76:77], s[16:17], v[65:66]
	v_fma_f64 v[53:54], v[69:70], s[2:3], v[53:54]
	s_delay_alu instid0(VALU_DEP_4) | instskip(NEXT) | instid1(VALU_DEP_4)
	v_fma_f64 v[63:64], v[69:70], s[8:9], v[63:64]
	v_fma_f64 v[55:56], v[78:79], s[8:9], v[55:56]
	s_delay_alu instid0(VALU_DEP_4) | instskip(NEXT) | instid1(VALU_DEP_4)
	v_fma_f64 v[65:66], v[78:79], s[2:3], v[65:66]
	v_fma_f64 v[53:54], v[57:58], s[18:19], v[53:54]
	s_delay_alu instid0(VALU_DEP_4) | instskip(SKIP_4) | instid1(VALU_DEP_4)
	v_fma_f64 v[57:58], v[57:58], s[18:19], v[63:64]
	v_add_f64 v[63:64], v[144:145], v[148:149]
	v_fma_f64 v[55:56], v[59:60], s[18:19], v[55:56]
	v_fma_f64 v[59:60], v[59:60], s[18:19], v[65:66]
	v_add_f64 v[65:66], v[146:147], v[150:151]
	v_fma_f64 v[63:64], v[63:64], -0.5, v[12:13]
	v_add_f64 v[12:13], v[12:13], v[140:141]
	s_delay_alu instid0(VALU_DEP_3) | instskip(SKIP_1) | instid1(VALU_DEP_3)
	v_fma_f64 v[65:66], v[65:66], -0.5, v[14:15]
	v_add_f64 v[14:15], v[14:15], v[142:143]
	v_add_f64 v[12:13], v[12:13], v[144:145]
	s_delay_alu instid0(VALU_DEP_2) | instskip(NEXT) | instid1(VALU_DEP_2)
	v_add_f64 v[14:15], v[14:15], v[146:147]
	v_add_f64 v[12:13], v[12:13], v[148:149]
	s_delay_alu instid0(VALU_DEP_2) | instskip(NEXT) | instid1(VALU_DEP_2)
	v_add_f64 v[14:15], v[14:15], v[150:151]
	v_add_f64 v[10:11], v[12:13], v[10:11]
	s_delay_alu instid0(VALU_DEP_2)
	v_add_f64 v[12:13], v[14:15], v[61:62]
	v_add_f64 v[14:15], v[61:62], -v[150:151]
	v_fma_f64 v[61:62], v[69:70], s[14:15], v[63:64]
	v_fma_f64 v[63:64], v[69:70], s[16:17], v[63:64]
	v_fma_f64 v[69:70], v[78:79], s[16:17], v[65:66]
	v_fma_f64 v[65:66], v[78:79], s[14:15], v[65:66]
	v_add_f64 v[78:79], v[92:93], v[96:97]
	v_add_f64 v[14:15], v[94:95], v[14:15]
	v_fma_f64 v[61:62], v[67:68], s[2:3], v[61:62]
	v_fma_f64 v[67:68], v[67:68], s[8:9], v[63:64]
	;; [unrolled: 1-line block ×4, first 2 shown]
	s_delay_alu instid0(VALU_DEP_4) | instskip(NEXT) | instid1(VALU_DEP_4)
	v_fma_f64 v[61:62], v[78:79], s[18:19], v[61:62]
	v_fma_f64 v[65:66], v[78:79], s[18:19], v[67:68]
	s_delay_alu instid0(VALU_DEP_4) | instskip(NEXT) | instid1(VALU_DEP_4)
	v_fma_f64 v[63:64], v[14:15], s[18:19], v[63:64]
	v_fma_f64 v[67:68], v[14:15], s[18:19], v[69:70]
	v_and_b32_e32 v14, 0xff, v19
	s_delay_alu instid0(VALU_DEP_1)
	v_lshl_add_u32 v14, v14, 4, v226
	ds_store_b128 v14, v[20:23] offset:2720
	ds_store_b128 v14, v[0:3] offset:2992
	;; [unrolled: 1-line block ×4, first 2 shown]
	v_and_b32_e32 v0, 0xff, v5
	scratch_store_b32 off, v14, off offset:920 ; 4-byte Folded Spill
	v_lshl_add_u32 v1, v0, 4, v226
	v_and_b32_e32 v0, 0xff, v71
	ds_store_b128 v1, v[41:44] offset:4080
	v_lshl_add_u32 v0, v0, 4, v226
	ds_store_b128 v14, v[6:9] offset:3808
	ds_store_b128 v1, v[33:36] offset:4352
	;; [unrolled: 1-line block ×4, first 2 shown]
	scratch_store_b32 off, v1, off offset:656 ; 4-byte Folded Spill
	ds_store_b128 v1, v[37:40] offset:5168
	ds_store_b128 v0, v[10:13] offset:5440
	;; [unrolled: 1-line block ×5, first 2 shown]
	scratch_store_b32 off, v0, off offset:648 ; 4-byte Folded Spill
	v_lshlrev_b32_e32 v11, 6, v24
	ds_store_b128 v0, v[65:68] offset:6528
	s_waitcnt lgkmcnt(0)
	s_waitcnt_vscnt null, 0x0
	s_barrier
	buffer_gl0_inv
	s_clause 0x3
	global_load_b128 v[31:34], v17, s[0:1] offset:1088
	global_load_b128 v[37:40], v17, s[0:1] offset:1104
	;; [unrolled: 1-line block ×4, first 2 shown]
	ds_load_b128 v[0:3], v224 offset:1360
	ds_load_b128 v[12:15], v224 offset:1088
	;; [unrolled: 1-line block ×4, first 2 shown]
	s_waitcnt vmcnt(3) lgkmcnt(3)
	v_mul_f64 v[9:10], v[2:3], v[33:34]
	v_mul_f64 v[25:26], v[0:1], v[33:34]
	scratch_store_b128 off, v[31:34], off offset:472 ; 16-byte Folded Spill
	s_waitcnt vmcnt(1)
	scratch_store_b128 off, v[41:44], off offset:616 ; 16-byte Folded Spill
	s_waitcnt lgkmcnt(1)
	v_mul_f64 v[27:28], v[7:8], v[39:40]
	v_mul_f64 v[29:30], v[5:6], v[39:40]
	scratch_store_b128 off, v[37:40], off offset:632 ; 16-byte Folded Spill
	v_fma_f64 v[9:10], v[0:1], v[31:32], -v[9:10]
	v_fma_f64 v[33:34], v[2:3], v[31:32], v[25:26]
	ds_load_b128 v[0:3], v224 offset:4080
	v_fma_f64 v[35:36], v[5:6], v[37:38], -v[27:28]
	v_fma_f64 v[37:38], v[7:8], v[37:38], v[29:30]
	ds_load_b128 v[5:8], v224 offset:3808
	s_waitcnt lgkmcnt(1)
	v_mul_f64 v[25:26], v[2:3], v[43:44]
	v_add_f64 v[140:141], v[37:38], -v[33:34]
	s_delay_alu instid0(VALU_DEP_2) | instskip(SKIP_1) | instid1(VALU_DEP_2)
	v_fma_f64 v[39:40], v[0:1], v[41:42], -v[25:26]
	v_mul_f64 v[0:1], v[0:1], v[43:44]
	v_add_f64 v[138:139], v[35:36], -v[39:40]
	s_delay_alu instid0(VALU_DEP_2)
	v_fma_f64 v[41:42], v[2:3], v[41:42], v[0:1]
	ds_load_b128 v[0:3], v224 offset:5440
	ds_load_b128 v[25:28], v224 offset:5712
	s_waitcnt vmcnt(0)
	scratch_store_b128 off, v[45:48], off offset:536 ; 16-byte Folded Spill
	s_waitcnt lgkmcnt(1)
	v_mul_f64 v[29:30], v[2:3], v[47:48]
	s_delay_alu instid0(VALU_DEP_1)
	v_fma_f64 v[43:44], v[0:1], v[45:46], -v[29:30]
	v_mul_f64 v[0:1], v[0:1], v[47:48]
	s_clause 0x1
	global_load_b128 v[54:57], v11, s[0:1] offset:1088
	global_load_b128 v[47:50], v11, s[0:1] offset:1104
	v_add_f64 v[102:103], v[9:10], -v[43:44]
	v_fma_f64 v[45:46], v[2:3], v[45:46], v[0:1]
	ds_load_b128 v[0:3], v224 offset:1632
	ds_load_b128 v[29:32], v224 offset:1904
	s_waitcnt vmcnt(1) lgkmcnt(1)
	v_mul_f64 v[23:24], v[2:3], v[56:57]
	scratch_store_b128 off, v[54:57], off offset:696 ; 16-byte Folded Spill
	s_waitcnt vmcnt(0)
	scratch_store_b128 off, v[47:50], off offset:664 ; 16-byte Folded Spill
	v_fma_f64 v[52:53], v[0:1], v[54:55], -v[23:24]
	v_mul_f64 v[0:1], v[0:1], v[56:57]
	s_delay_alu instid0(VALU_DEP_1) | instskip(SKIP_1) | instid1(VALU_DEP_1)
	v_fma_f64 v[54:55], v[2:3], v[54:55], v[0:1]
	v_mul_f64 v[0:1], v[21:22], v[49:50]
	v_fma_f64 v[56:57], v[19:20], v[47:48], -v[0:1]
	v_mul_f64 v[0:1], v[19:20], v[49:50]
	s_delay_alu instid0(VALU_DEP_1)
	v_fma_f64 v[58:59], v[21:22], v[47:48], v[0:1]
	s_clause 0x1
	global_load_b128 v[62:65], v11, s[0:1] offset:1120
	global_load_b128 v[47:50], v11, s[0:1] offset:1136
	ds_load_b128 v[0:3], v224 offset:4352
	ds_load_b128 v[19:22], v224 offset:4624
	v_lshlrev_b32_e32 v11, 6, v16
	s_waitcnt vmcnt(1) lgkmcnt(1)
	v_mul_f64 v[23:24], v[2:3], v[64:65]
	scratch_store_b128 off, v[62:65], off offset:712 ; 16-byte Folded Spill
	s_waitcnt vmcnt(0)
	scratch_store_b128 off, v[47:50], off offset:680 ; 16-byte Folded Spill
	v_fma_f64 v[60:61], v[0:1], v[62:63], -v[23:24]
	v_mul_f64 v[0:1], v[0:1], v[64:65]
	s_delay_alu instid0(VALU_DEP_1) | instskip(SKIP_1) | instid1(VALU_DEP_1)
	v_fma_f64 v[62:63], v[2:3], v[62:63], v[0:1]
	v_mul_f64 v[0:1], v[27:28], v[49:50]
	v_fma_f64 v[64:65], v[25:26], v[47:48], -v[0:1]
	v_mul_f64 v[0:1], v[25:26], v[49:50]
	s_delay_alu instid0(VALU_DEP_1)
	v_fma_f64 v[66:67], v[27:28], v[47:48], v[0:1]
	s_clause 0x1
	global_load_b128 v[23:26], v11, s[0:1] offset:1088
	global_load_b128 v[47:50], v11, s[0:1] offset:1104
	s_waitcnt vmcnt(1)
	v_mul_f64 v[0:1], v[31:32], v[25:26]
	scratch_store_b128 off, v[23:26], off offset:760 ; 16-byte Folded Spill
	v_fma_f64 v[16:17], v[29:30], v[23:24], -v[0:1]
	v_mul_f64 v[0:1], v[29:30], v[25:26]
	s_delay_alu instid0(VALU_DEP_1)
	v_fma_f64 v[76:77], v[31:32], v[23:24], v[0:1]
	ds_load_b128 v[0:3], v224 offset:3264
	ds_load_b128 v[23:26], v224 offset:3536
	s_waitcnt vmcnt(0)
	scratch_store_b128 off, v[47:50], off offset:728 ; 16-byte Folded Spill
	s_waitcnt lgkmcnt(1)
	v_mul_f64 v[27:28], v[2:3], v[49:50]
	s_delay_alu instid0(VALU_DEP_1) | instskip(SKIP_1) | instid1(VALU_DEP_1)
	v_fma_f64 v[78:79], v[0:1], v[47:48], -v[27:28]
	v_mul_f64 v[0:1], v[0:1], v[49:50]
	v_fma_f64 v[92:93], v[2:3], v[47:48], v[0:1]
	s_clause 0x1
	global_load_b128 v[47:50], v11, s[0:1] offset:1120
	global_load_b128 v[29:32], v11, s[0:1] offset:1136
	v_lshlrev_b32_e32 v11, 6, v18
	s_waitcnt vmcnt(1)
	v_mul_f64 v[0:1], v[21:22], v[49:50]
	scratch_store_b128 off, v[47:50], off offset:792 ; 16-byte Folded Spill
	v_fma_f64 v[94:95], v[19:20], v[47:48], -v[0:1]
	v_mul_f64 v[0:1], v[19:20], v[49:50]
	s_delay_alu instid0(VALU_DEP_2) | instskip(NEXT) | instid1(VALU_DEP_2)
	v_add_f64 v[142:143], v[78:79], -v[94:95]
	v_fma_f64 v[96:97], v[21:22], v[47:48], v[0:1]
	ds_load_b128 v[0:3], v224 offset:5984
	ds_load_b128 v[19:22], v224 offset:6256
	s_waitcnt vmcnt(0)
	scratch_store_b128 off, v[29:32], off offset:744 ; 16-byte Folded Spill
	s_clause 0x1
	global_load_b128 v[68:71], v11, s[0:1] offset:1088
	global_load_b128 v[47:50], v11, s[0:1] offset:1104
	s_waitcnt lgkmcnt(1)
	v_mul_f64 v[27:28], v[2:3], v[31:32]
	s_delay_alu instid0(VALU_DEP_1) | instskip(SKIP_1) | instid1(VALU_DEP_1)
	v_fma_f64 v[98:99], v[0:1], v[29:30], -v[27:28]
	v_mul_f64 v[0:1], v[0:1], v[31:32]
	v_fma_f64 v[100:101], v[2:3], v[29:30], v[0:1]
	ds_load_b128 v[0:3], v224 offset:2176
	ds_load_b128 v[27:30], v224 offset:2448
	s_waitcnt vmcnt(1) lgkmcnt(1)
	v_mul_f64 v[31:32], v[2:3], v[70:71]
	scratch_store_b128 off, v[68:71], off offset:824 ; 16-byte Folded Spill
	s_waitcnt vmcnt(0)
	scratch_store_b128 off, v[47:50], off offset:776 ; 16-byte Folded Spill
	v_fma_f64 v[104:105], v[0:1], v[68:69], -v[31:32]
	v_mul_f64 v[0:1], v[0:1], v[70:71]
	s_delay_alu instid0(VALU_DEP_1) | instskip(SKIP_1) | instid1(VALU_DEP_1)
	v_fma_f64 v[106:107], v[2:3], v[68:69], v[0:1]
	v_mul_f64 v[0:1], v[25:26], v[49:50]
	v_fma_f64 v[112:113], v[23:24], v[47:48], -v[0:1]
	v_mul_f64 v[0:1], v[23:24], v[49:50]
	s_delay_alu instid0(VALU_DEP_1)
	v_fma_f64 v[114:115], v[25:26], v[47:48], v[0:1]
	s_clause 0x1
	global_load_b128 v[68:71], v11, s[0:1] offset:1120
	global_load_b128 v[47:50], v11, s[0:1] offset:1136
	ds_load_b128 v[0:3], v224 offset:4896
	ds_load_b128 v[23:26], v224 offset:5168
	s_waitcnt vmcnt(1) lgkmcnt(1)
	v_mul_f64 v[31:32], v[2:3], v[70:71]
	scratch_store_b128 off, v[68:71], off offset:840 ; 16-byte Folded Spill
	s_waitcnt vmcnt(0)
	scratch_store_b128 off, v[47:50], off offset:808 ; 16-byte Folded Spill
	v_fma_f64 v[116:117], v[0:1], v[68:69], -v[31:32]
	v_mul_f64 v[0:1], v[0:1], v[70:71]
	s_delay_alu instid0(VALU_DEP_1) | instskip(SKIP_2) | instid1(VALU_DEP_2)
	v_fma_f64 v[118:119], v[2:3], v[68:69], v[0:1]
	v_mul_f64 v[0:1], v[21:22], v[49:50]
	v_lshlrev_b32_e32 v2, 6, v4
	v_fma_f64 v[124:125], v[19:20], v[47:48], -v[0:1]
	v_mul_f64 v[0:1], v[19:20], v[49:50]
	s_delay_alu instid0(VALU_DEP_1)
	v_fma_f64 v[18:19], v[21:22], v[47:48], v[0:1]
	s_clause 0x1
	global_load_b128 v[68:71], v2, s[0:1] offset:1088
	global_load_b128 v[47:50], v2, s[0:1] offset:1104
	s_waitcnt vmcnt(1)
	v_mul_f64 v[0:1], v[29:30], v[70:71]
	scratch_store_b128 off, v[68:71], off offset:888 ; 16-byte Folded Spill
	s_waitcnt vmcnt(0)
	scratch_store_b128 off, v[47:50], off offset:856 ; 16-byte Folded Spill
	v_fma_f64 v[20:21], v[27:28], v[68:69], -v[0:1]
	v_mul_f64 v[0:1], v[27:28], v[70:71]
	v_add_f64 v[70:71], v[37:38], -v[41:42]
	s_delay_alu instid0(VALU_DEP_2) | instskip(SKIP_2) | instid1(VALU_DEP_2)
	v_fma_f64 v[126:127], v[29:30], v[68:69], v[0:1]
	v_mul_f64 v[0:1], v[7:8], v[49:50]
	v_add_f64 v[68:69], v[33:34], -v[45:46]
	v_fma_f64 v[128:129], v[5:6], v[47:48], -v[0:1]
	v_mul_f64 v[0:1], v[5:6], v[49:50]
	s_clause 0x1
	global_load_b128 v[3:6], v2, s[0:1] offset:1120
	global_load_b128 v[27:30], v2, s[0:1] offset:1136
	v_fma_f64 v[130:131], v[7:8], v[47:48], v[0:1]
	s_waitcnt vmcnt(1) lgkmcnt(0)
	v_mul_f64 v[0:1], v[25:26], v[5:6]
	scratch_store_b128 off, v[3:6], off offset:904 ; 16-byte Folded Spill
	s_waitcnt vmcnt(0)
	scratch_store_b128 off, v[27:30], off offset:872 ; 16-byte Folded Spill
	v_fma_f64 v[132:133], v[23:24], v[3:4], -v[0:1]
	v_mul_f64 v[0:1], v[23:24], v[5:6]
	s_delay_alu instid0(VALU_DEP_1) | instskip(SKIP_4) | instid1(VALU_DEP_1)
	v_fma_f64 v[22:23], v[25:26], v[3:4], v[0:1]
	ds_load_b128 v[0:3], v224 offset:6528
	v_add_f64 v[24:25], v[35:36], v[39:40]
	s_waitcnt lgkmcnt(0)
	v_mul_f64 v[4:5], v[2:3], v[29:30]
	v_fma_f64 v[134:135], v[0:1], v[27:28], -v[4:5]
	v_mul_f64 v[0:1], v[0:1], v[29:30]
	s_delay_alu instid0(VALU_DEP_1) | instskip(SKIP_2) | instid1(VALU_DEP_1)
	v_fma_f64 v[136:137], v[2:3], v[27:28], v[0:1]
	v_add_f64 v[0:1], v[9:10], -v[35:36]
	v_add_f64 v[2:3], v[43:44], -v[39:40]
	v_add_f64 v[28:29], v[0:1], v[2:3]
	v_add_f64 v[0:1], v[33:34], -v[37:38]
	v_add_f64 v[2:3], v[45:46], -v[41:42]
	s_delay_alu instid0(VALU_DEP_1)
	v_add_f64 v[30:31], v[0:1], v[2:3]
	ds_load_b128 v[0:3], v224
	ds_load_b128 v[4:7], v224 offset:272
	s_waitcnt lgkmcnt(1)
	v_fma_f64 v[47:48], v[24:25], -0.5, v[0:1]
	v_add_f64 v[24:25], v[37:38], v[41:42]
	s_delay_alu instid0(VALU_DEP_1) | instskip(NEXT) | instid1(VALU_DEP_3)
	v_fma_f64 v[49:50], v[24:25], -0.5, v[2:3]
	v_fma_f64 v[24:25], v[68:69], s[14:15], v[47:48]
	v_fma_f64 v[47:48], v[68:69], s[16:17], v[47:48]
	s_delay_alu instid0(VALU_DEP_3) | instskip(SKIP_1) | instid1(VALU_DEP_4)
	v_fma_f64 v[26:27], v[102:103], s[16:17], v[49:50]
	v_fma_f64 v[49:50], v[102:103], s[14:15], v[49:50]
	;; [unrolled: 1-line block ×3, first 2 shown]
	s_delay_alu instid0(VALU_DEP_4) | instskip(NEXT) | instid1(VALU_DEP_4)
	v_fma_f64 v[47:48], v[70:71], s[8:9], v[47:48]
	v_fma_f64 v[26:27], v[138:139], s[8:9], v[26:27]
	s_delay_alu instid0(VALU_DEP_4) | instskip(NEXT) | instid1(VALU_DEP_4)
	v_fma_f64 v[49:50], v[138:139], s[2:3], v[49:50]
	v_fma_f64 v[24:25], v[28:29], s[18:19], v[24:25]
	s_delay_alu instid0(VALU_DEP_4) | instskip(SKIP_4) | instid1(VALU_DEP_4)
	v_fma_f64 v[28:29], v[28:29], s[18:19], v[47:48]
	v_add_f64 v[47:48], v[9:10], v[43:44]
	v_fma_f64 v[26:27], v[30:31], s[18:19], v[26:27]
	v_fma_f64 v[30:31], v[30:31], s[18:19], v[49:50]
	v_add_f64 v[49:50], v[33:34], v[45:46]
	v_fma_f64 v[47:48], v[47:48], -0.5, v[0:1]
	v_add_f64 v[0:1], v[0:1], v[9:10]
	v_add_f64 v[8:9], v[35:36], -v[9:10]
	v_add_f64 v[10:11], v[39:40], -v[43:44]
	v_fma_f64 v[49:50], v[49:50], -0.5, v[2:3]
	v_add_f64 v[2:3], v[2:3], v[33:34]
	v_add_f64 v[0:1], v[0:1], v[35:36]
	s_delay_alu instid0(VALU_DEP_4) | instskip(NEXT) | instid1(VALU_DEP_3)
	v_add_f64 v[8:9], v[8:9], v[10:11]
	v_add_f64 v[2:3], v[2:3], v[37:38]
	v_fma_f64 v[36:37], v[70:71], s[14:15], v[47:48]
	s_delay_alu instid0(VALU_DEP_4) | instskip(SKIP_1) | instid1(VALU_DEP_4)
	v_add_f64 v[0:1], v[0:1], v[39:40]
	v_fma_f64 v[38:39], v[138:139], s[14:15], v[49:50]
	v_add_f64 v[2:3], v[2:3], v[41:42]
	s_delay_alu instid0(VALU_DEP_4) | instskip(NEXT) | instid1(VALU_DEP_4)
	v_fma_f64 v[10:11], v[68:69], s[8:9], v[36:37]
	v_add_f64 v[32:33], v[0:1], v[43:44]
	v_add_f64 v[0:1], v[41:42], -v[45:46]
	v_fma_f64 v[40:41], v[138:139], s[16:17], v[49:50]
	v_fma_f64 v[38:39], v[102:103], s[8:9], v[38:39]
	v_add_f64 v[138:139], v[56:57], -v[60:61]
	v_add_f64 v[34:35], v[2:3], v[45:46]
	v_fma_f64 v[2:3], v[70:71], s[16:17], v[47:48]
	v_add_f64 v[70:71], v[58:59], -v[62:63]
	v_add_f64 v[0:1], v[140:141], v[0:1]
	v_fma_f64 v[42:43], v[102:103], s[2:3], v[40:41]
	v_fma_f64 v[40:41], v[8:9], s[18:19], v[10:11]
	v_add_f64 v[10:11], v[58:59], v[62:63]
	v_add_f64 v[102:103], v[52:53], -v[64:65]
	v_add_f64 v[140:141], v[16:17], -v[98:99]
	v_fma_f64 v[2:3], v[68:69], s[2:3], v[2:3]
	v_add_f64 v[68:69], v[54:55], -v[66:67]
	v_fma_f64 v[38:39], v[0:1], s[18:19], v[38:39]
	v_fma_f64 v[42:43], v[0:1], s[18:19], v[42:43]
	v_add_f64 v[0:1], v[52:53], -v[56:57]
	s_waitcnt lgkmcnt(0)
	v_fma_f64 v[10:11], v[10:11], -0.5, v[6:7]
	v_fma_f64 v[36:37], v[8:9], s[18:19], v[2:3]
	v_add_f64 v[2:3], v[64:65], -v[60:61]
	v_add_f64 v[8:9], v[66:67], -v[62:63]
	s_delay_alu instid0(VALU_DEP_4) | instskip(SKIP_1) | instid1(VALU_DEP_4)
	v_fma_f64 v[46:47], v[102:103], s[16:17], v[10:11]
	v_fma_f64 v[10:11], v[102:103], s[14:15], v[10:11]
	v_add_f64 v[0:1], v[0:1], v[2:3]
	v_add_f64 v[2:3], v[54:55], -v[58:59]
	s_delay_alu instid0(VALU_DEP_4) | instskip(NEXT) | instid1(VALU_DEP_4)
	v_fma_f64 v[46:47], v[138:139], s[8:9], v[46:47]
	v_fma_f64 v[10:11], v[138:139], s[2:3], v[10:11]
	s_delay_alu instid0(VALU_DEP_3) | instskip(SKIP_1) | instid1(VALU_DEP_2)
	v_add_f64 v[2:3], v[2:3], v[8:9]
	v_add_f64 v[8:9], v[56:57], v[60:61]
	v_fma_f64 v[46:47], v[2:3], s[18:19], v[46:47]
	s_delay_alu instid0(VALU_DEP_2) | instskip(SKIP_3) | instid1(VALU_DEP_4)
	v_fma_f64 v[8:9], v[8:9], -0.5, v[4:5]
	v_fma_f64 v[50:51], v[2:3], s[18:19], v[10:11]
	v_add_f64 v[2:3], v[54:55], v[66:67]
	v_add_f64 v[10:11], v[56:57], -v[52:53]
	v_fma_f64 v[44:45], v[68:69], s[14:15], v[8:9]
	v_fma_f64 v[8:9], v[68:69], s[16:17], v[8:9]
	s_delay_alu instid0(VALU_DEP_4) | instskip(SKIP_1) | instid1(VALU_DEP_4)
	v_fma_f64 v[2:3], v[2:3], -0.5, v[6:7]
	v_add_f64 v[6:7], v[6:7], v[54:55]
	v_fma_f64 v[44:45], v[70:71], s[2:3], v[44:45]
	s_delay_alu instid0(VALU_DEP_4) | instskip(NEXT) | instid1(VALU_DEP_3)
	v_fma_f64 v[8:9], v[70:71], s[8:9], v[8:9]
	v_add_f64 v[6:7], v[6:7], v[58:59]
	s_delay_alu instid0(VALU_DEP_3) | instskip(NEXT) | instid1(VALU_DEP_3)
	v_fma_f64 v[44:45], v[0:1], s[18:19], v[44:45]
	v_fma_f64 v[48:49], v[0:1], s[18:19], v[8:9]
	v_add_f64 v[0:1], v[52:53], v[64:65]
	s_delay_alu instid0(VALU_DEP_4)
	v_add_f64 v[6:7], v[6:7], v[62:63]
	v_add_f64 v[8:9], v[58:59], -v[54:55]
	v_fma_f64 v[58:59], v[138:139], s[14:15], v[2:3]
	v_fma_f64 v[2:3], v[138:139], s[16:17], v[2:3]
	v_add_f64 v[138:139], v[92:93], -v[96:97]
	v_fma_f64 v[0:1], v[0:1], -0.5, v[4:5]
	v_add_f64 v[4:5], v[4:5], v[52:53]
	v_add_f64 v[54:55], v[6:7], v[66:67]
	v_fma_f64 v[2:3], v[102:103], s[2:3], v[2:3]
	s_delay_alu instid0(VALU_DEP_4) | instskip(NEXT) | instid1(VALU_DEP_4)
	v_fma_f64 v[6:7], v[70:71], s[16:17], v[0:1]
	v_add_f64 v[4:5], v[4:5], v[56:57]
	v_add_f64 v[56:57], v[60:61], -v[64:65]
	v_fma_f64 v[0:1], v[70:71], s[14:15], v[0:1]
	s_delay_alu instid0(VALU_DEP_4) | instskip(NEXT) | instid1(VALU_DEP_4)
	v_fma_f64 v[6:7], v[68:69], s[2:3], v[6:7]
	v_add_f64 v[4:5], v[4:5], v[60:61]
	s_delay_alu instid0(VALU_DEP_4) | instskip(NEXT) | instid1(VALU_DEP_4)
	v_add_f64 v[10:11], v[10:11], v[56:57]
	v_fma_f64 v[0:1], v[68:69], s[8:9], v[0:1]
	s_delay_alu instid0(VALU_DEP_3) | instskip(SKIP_1) | instid1(VALU_DEP_3)
	v_add_f64 v[52:53], v[4:5], v[64:65]
	v_add_f64 v[4:5], v[62:63], -v[66:67]
	v_fma_f64 v[60:61], v[10:11], s[18:19], v[0:1]
	v_add_f64 v[0:1], v[16:17], -v[78:79]
	v_add_f64 v[64:65], v[78:79], v[94:95]
	v_fma_f64 v[56:57], v[10:11], s[18:19], v[6:7]
	v_add_f64 v[4:5], v[8:9], v[4:5]
	v_fma_f64 v[8:9], v[102:103], s[8:9], v[58:59]
	v_add_f64 v[102:103], v[76:77], -v[100:101]
	s_delay_alu instid0(VALU_DEP_3) | instskip(SKIP_1) | instid1(VALU_DEP_4)
	v_fma_f64 v[62:63], v[4:5], s[18:19], v[2:3]
	v_add_f64 v[2:3], v[98:99], -v[94:95]
	v_fma_f64 v[58:59], v[4:5], s[18:19], v[8:9]
	s_delay_alu instid0(VALU_DEP_2) | instskip(SKIP_2) | instid1(VALU_DEP_1)
	v_add_f64 v[8:9], v[0:1], v[2:3]
	v_add_f64 v[0:1], v[76:77], -v[92:93]
	v_add_f64 v[2:3], v[100:101], -v[96:97]
	v_add_f64 v[10:11], v[0:1], v[2:3]
	ds_load_b128 v[0:3], v224 offset:544
	ds_load_b128 v[4:7], v224 offset:816
	s_waitcnt lgkmcnt(1)
	v_fma_f64 v[68:69], v[64:65], -0.5, v[0:1]
	v_add_f64 v[64:65], v[92:93], v[96:97]
	s_delay_alu instid0(VALU_DEP_1) | instskip(NEXT) | instid1(VALU_DEP_3)
	v_fma_f64 v[70:71], v[64:65], -0.5, v[2:3]
	v_fma_f64 v[64:65], v[102:103], s[14:15], v[68:69]
	v_fma_f64 v[68:69], v[102:103], s[16:17], v[68:69]
	s_delay_alu instid0(VALU_DEP_3) | instskip(SKIP_1) | instid1(VALU_DEP_4)
	v_fma_f64 v[66:67], v[140:141], s[16:17], v[70:71]
	v_fma_f64 v[70:71], v[140:141], s[14:15], v[70:71]
	;; [unrolled: 1-line block ×3, first 2 shown]
	s_delay_alu instid0(VALU_DEP_4) | instskip(NEXT) | instid1(VALU_DEP_4)
	v_fma_f64 v[68:69], v[138:139], s[8:9], v[68:69]
	v_fma_f64 v[66:67], v[142:143], s[8:9], v[66:67]
	s_delay_alu instid0(VALU_DEP_4) | instskip(NEXT) | instid1(VALU_DEP_4)
	v_fma_f64 v[70:71], v[142:143], s[2:3], v[70:71]
	v_fma_f64 v[64:65], v[8:9], s[18:19], v[64:65]
	s_delay_alu instid0(VALU_DEP_4) | instskip(SKIP_4) | instid1(VALU_DEP_4)
	v_fma_f64 v[68:69], v[8:9], s[18:19], v[68:69]
	v_add_f64 v[8:9], v[16:17], v[98:99]
	v_fma_f64 v[66:67], v[10:11], s[18:19], v[66:67]
	v_fma_f64 v[70:71], v[10:11], s[18:19], v[70:71]
	v_add_f64 v[10:11], v[76:77], v[100:101]
	v_fma_f64 v[8:9], v[8:9], -0.5, v[0:1]
	v_add_f64 v[0:1], v[0:1], v[16:17]
	v_add_f64 v[16:17], v[78:79], -v[16:17]
	s_delay_alu instid0(VALU_DEP_4) | instskip(SKIP_1) | instid1(VALU_DEP_4)
	v_fma_f64 v[10:11], v[10:11], -0.5, v[2:3]
	v_add_f64 v[2:3], v[2:3], v[76:77]
	v_add_f64 v[0:1], v[0:1], v[78:79]
	s_delay_alu instid0(VALU_DEP_2) | instskip(SKIP_1) | instid1(VALU_DEP_3)
	v_add_f64 v[2:3], v[2:3], v[92:93]
	v_add_f64 v[92:93], v[92:93], -v[76:77]
	v_add_f64 v[0:1], v[0:1], v[94:95]
	v_add_f64 v[94:95], v[94:95], -v[98:99]
	s_delay_alu instid0(VALU_DEP_4) | instskip(NEXT) | instid1(VALU_DEP_3)
	v_add_f64 v[2:3], v[2:3], v[96:97]
	v_add_f64 v[76:77], v[0:1], v[98:99]
	v_add_f64 v[0:1], v[96:97], -v[100:101]
	v_fma_f64 v[96:97], v[142:143], s[14:15], v[10:11]
	v_fma_f64 v[10:11], v[142:143], s[16:17], v[10:11]
	v_add_f64 v[16:17], v[16:17], v[94:95]
	v_add_f64 v[142:143], v[112:113], -v[116:117]
	v_add_f64 v[78:79], v[2:3], v[100:101]
	v_fma_f64 v[2:3], v[138:139], s[16:17], v[8:9]
	v_fma_f64 v[8:9], v[138:139], s[14:15], v[8:9]
	v_add_f64 v[0:1], v[92:93], v[0:1]
	v_fma_f64 v[94:95], v[140:141], s[8:9], v[96:97]
	v_fma_f64 v[10:11], v[140:141], s[2:3], v[10:11]
	v_add_f64 v[140:141], v[104:105], -v[124:125]
	v_add_f64 v[138:139], v[114:115], -v[118:119]
	v_fma_f64 v[2:3], v[102:103], s[2:3], v[2:3]
	v_fma_f64 v[8:9], v[102:103], s[8:9], v[8:9]
	;; [unrolled: 1-line block ×4, first 2 shown]
	v_add_f64 v[0:1], v[104:105], -v[112:113]
	v_add_f64 v[10:11], v[114:115], v[118:119]
	v_fma_f64 v[92:93], v[16:17], s[18:19], v[2:3]
	v_add_f64 v[2:3], v[124:125], -v[116:117]
	v_fma_f64 v[96:97], v[16:17], s[18:19], v[8:9]
	v_add_f64 v[8:9], v[18:19], -v[118:119]
	v_add_f64 v[16:17], v[106:107], -v[18:19]
	s_waitcnt lgkmcnt(0)
	v_fma_f64 v[10:11], v[10:11], -0.5, v[6:7]
	v_add_f64 v[0:1], v[0:1], v[2:3]
	v_add_f64 v[2:3], v[106:107], -v[114:115]
	s_delay_alu instid0(VALU_DEP_3) | instskip(SKIP_1) | instid1(VALU_DEP_3)
	v_fma_f64 v[102:103], v[140:141], s[16:17], v[10:11]
	v_fma_f64 v[10:11], v[140:141], s[14:15], v[10:11]
	v_add_f64 v[2:3], v[2:3], v[8:9]
	v_add_f64 v[8:9], v[112:113], v[116:117]
	s_delay_alu instid0(VALU_DEP_4) | instskip(NEXT) | instid1(VALU_DEP_4)
	v_fma_f64 v[102:103], v[142:143], s[8:9], v[102:103]
	v_fma_f64 v[10:11], v[142:143], s[2:3], v[10:11]
	s_delay_alu instid0(VALU_DEP_3) | instskip(NEXT) | instid1(VALU_DEP_3)
	v_fma_f64 v[8:9], v[8:9], -0.5, v[4:5]
	v_fma_f64 v[102:103], v[2:3], s[18:19], v[102:103]
	s_delay_alu instid0(VALU_DEP_3) | instskip(SKIP_4) | instid1(VALU_DEP_4)
	v_fma_f64 v[86:87], v[2:3], s[18:19], v[10:11]
	v_add_f64 v[2:3], v[106:107], v[18:19]
	v_add_f64 v[10:11], v[114:115], -v[106:107]
	v_fma_f64 v[100:101], v[16:17], s[14:15], v[8:9]
	v_fma_f64 v[8:9], v[16:17], s[16:17], v[8:9]
	v_fma_f64 v[2:3], v[2:3], -0.5, v[6:7]
	v_add_f64 v[6:7], v[6:7], v[106:107]
	s_delay_alu instid0(VALU_DEP_4) | instskip(NEXT) | instid1(VALU_DEP_4)
	v_fma_f64 v[100:101], v[138:139], s[2:3], v[100:101]
	v_fma_f64 v[8:9], v[138:139], s[8:9], v[8:9]
	s_delay_alu instid0(VALU_DEP_3) | instskip(SKIP_1) | instid1(VALU_DEP_4)
	v_add_f64 v[6:7], v[6:7], v[114:115]
	v_add_f64 v[114:115], v[126:127], -v[136:137]
	v_fma_f64 v[100:101], v[0:1], s[18:19], v[100:101]
	s_delay_alu instid0(VALU_DEP_4) | instskip(SKIP_3) | instid1(VALU_DEP_3)
	v_fma_f64 v[84:85], v[0:1], s[18:19], v[8:9]
	v_add_f64 v[0:1], v[104:105], v[124:125]
	v_add_f64 v[8:9], v[112:113], -v[104:105]
	v_add_f64 v[6:7], v[6:7], v[118:119]
	v_fma_f64 v[0:1], v[0:1], -0.5, v[4:5]
	v_add_f64 v[4:5], v[4:5], v[104:105]
	s_delay_alu instid0(VALU_DEP_3) | instskip(NEXT) | instid1(VALU_DEP_3)
	v_add_f64 v[106:107], v[6:7], v[18:19]
	v_fma_f64 v[6:7], v[138:139], s[16:17], v[0:1]
	s_delay_alu instid0(VALU_DEP_3) | instskip(SKIP_2) | instid1(VALU_DEP_4)
	v_add_f64 v[4:5], v[4:5], v[112:113]
	v_add_f64 v[112:113], v[116:117], -v[124:125]
	v_fma_f64 v[0:1], v[138:139], s[14:15], v[0:1]
	v_fma_f64 v[6:7], v[16:17], s[2:3], v[6:7]
	s_delay_alu instid0(VALU_DEP_4) | instskip(NEXT) | instid1(VALU_DEP_4)
	v_add_f64 v[4:5], v[4:5], v[116:117]
	v_add_f64 v[8:9], v[8:9], v[112:113]
	s_delay_alu instid0(VALU_DEP_4)
	v_fma_f64 v[0:1], v[16:17], s[8:9], v[0:1]
	v_add_f64 v[112:113], v[130:131], -v[22:23]
	v_add_f64 v[116:117], v[128:129], -v[132:133]
	v_add_f64 v[104:105], v[4:5], v[124:125]
	v_add_f64 v[4:5], v[118:119], -v[18:19]
	v_fma_f64 v[18:19], v[142:143], s[14:15], v[2:3]
	v_fma_f64 v[2:3], v[142:143], s[16:17], v[2:3]
	;; [unrolled: 1-line block ×3, first 2 shown]
	v_add_f64 v[6:7], v[132:133], -v[134:135]
	v_fma_f64 v[88:89], v[8:9], s[18:19], v[0:1]
	v_add_f64 v[8:9], v[22:23], -v[136:137]
	v_add_f64 v[118:119], v[20:21], -v[134:135]
	v_lshl_add_u32 v0, v72, 4, v226
	ds_store_b128 v0, v[52:55] offset:272
	ds_store_b128 v0, v[76:79] offset:544
	ds_store_b128 v0, v[24:27] offset:1360
	ds_store_b128 v0, v[44:47] offset:1632
	ds_store_b128 v0, v[36:39] offset:2720
	ds_store_b128 v0, v[56:59] offset:2992
	ds_store_b128 v0, v[40:43] offset:4080
	ds_store_b128 v0, v[60:63] offset:4352
	ds_store_b128 v0, v[28:31] offset:5440
	ds_store_b128 v0, v[48:51] offset:5712
	ds_store_b128 v224, v[32:35]
	ds_store_b128 v224, v[64:67] offset:1904
	ds_store_b128 v224, v[92:95] offset:3264
	;; [unrolled: 1-line block ×6, first 2 shown]
	scratch_store_b128 off, v[84:87], off offset:1076 ; 16-byte Folded Spill
	ds_store_b128 v224, v[84:87] offset:6256
	v_add_f64 v[4:5], v[10:11], v[4:5]
	v_fma_f64 v[10:11], v[140:141], s[8:9], v[18:19]
	v_fma_f64 v[2:3], v[140:141], s[2:3], v[2:3]
	s_delay_alu instid0(VALU_DEP_2) | instskip(NEXT) | instid1(VALU_DEP_2)
	v_fma_f64 v[82:83], v[4:5], s[18:19], v[10:11]
	v_fma_f64 v[90:91], v[4:5], s[18:19], v[2:3]
	v_add_f64 v[4:5], v[128:129], -v[20:21]
	scratch_store_b128 off, v[80:83], off offset:1060 ; 16-byte Folded Spill
	ds_store_b128 v224, v[80:83] offset:3536
	ds_store_b128 v224, v[88:91] offset:4896
	v_add_f64 v[4:5], v[4:5], v[6:7]
	v_add_f64 v[6:7], v[130:131], -v[126:127]
	scratch_store_b128 off, v[88:91], off offset:1092 ; 16-byte Folded Spill
	v_add_f64 v[6:7], v[6:7], v[8:9]
	v_add_f64 v[8:9], v[20:21], v[134:135]
	s_delay_alu instid0(VALU_DEP_1) | instskip(SKIP_1) | instid1(VALU_DEP_1)
	v_fma_f64 v[16:17], v[8:9], -0.5, v[12:13]
	v_add_f64 v[8:9], v[126:127], v[136:137]
	v_fma_f64 v[18:19], v[8:9], -0.5, v[14:15]
	s_delay_alu instid0(VALU_DEP_3) | instskip(SKIP_1) | instid1(VALU_DEP_3)
	v_fma_f64 v[8:9], v[112:113], s[16:17], v[16:17]
	v_fma_f64 v[16:17], v[112:113], s[14:15], v[16:17]
	v_fma_f64 v[10:11], v[116:117], s[14:15], v[18:19]
	s_delay_alu instid0(VALU_DEP_3) | instskip(SKIP_1) | instid1(VALU_DEP_4)
	v_fma_f64 v[8:9], v[114:115], s[2:3], v[8:9]
	v_fma_f64 v[18:19], v[116:117], s[16:17], v[18:19]
	;; [unrolled: 1-line block ×3, first 2 shown]
	s_delay_alu instid0(VALU_DEP_4) | instskip(NEXT) | instid1(VALU_DEP_4)
	v_fma_f64 v[10:11], v[118:119], s[8:9], v[10:11]
	v_fma_f64 v[8:9], v[4:5], s[18:19], v[8:9]
	s_delay_alu instid0(VALU_DEP_4) | instskip(NEXT) | instid1(VALU_DEP_4)
	v_fma_f64 v[18:19], v[118:119], s[2:3], v[18:19]
	v_fma_f64 v[16:17], v[4:5], s[18:19], v[16:17]
	v_add_f64 v[4:5], v[128:129], v[132:133]
	v_fma_f64 v[10:11], v[6:7], s[18:19], v[10:11]
	s_delay_alu instid0(VALU_DEP_4) | instskip(SKIP_1) | instid1(VALU_DEP_4)
	v_fma_f64 v[18:19], v[6:7], s[18:19], v[18:19]
	v_add_f64 v[6:7], v[14:15], v[126:127]
	v_fma_f64 v[124:125], v[4:5], -0.5, v[12:13]
	v_add_f64 v[4:5], v[130:131], v[22:23]
	s_delay_alu instid0(VALU_DEP_3) | instskip(NEXT) | instid1(VALU_DEP_2)
	v_add_f64 v[6:7], v[6:7], v[130:131]
	v_fma_f64 v[138:139], v[4:5], -0.5, v[14:15]
	v_add_f64 v[4:5], v[12:13], v[20:21]
	v_add_f64 v[12:13], v[20:21], -v[128:129]
	v_add_f64 v[14:15], v[126:127], -v[130:131]
	;; [unrolled: 1-line block ×3, first 2 shown]
	v_fma_f64 v[126:127], v[114:115], s[14:15], v[124:125]
	v_fma_f64 v[114:115], v[114:115], s[16:17], v[124:125]
	v_add_f64 v[6:7], v[6:7], v[22:23]
	v_add_f64 v[22:23], v[136:137], -v[22:23]
	v_fma_f64 v[124:125], v[118:119], s[16:17], v[138:139]
	v_add_f64 v[4:5], v[4:5], v[128:129]
	v_fma_f64 v[118:119], v[118:119], s[14:15], v[138:139]
	v_add_f64 v[20:21], v[12:13], v[20:21]
	v_fma_f64 v[12:13], v[112:113], s[2:3], v[126:127]
	v_fma_f64 v[112:113], v[112:113], s[8:9], v[114:115]
	v_add_f64 v[22:23], v[14:15], v[22:23]
	v_fma_f64 v[14:15], v[116:117], s[8:9], v[124:125]
	v_add_f64 v[4:5], v[4:5], v[132:133]
	v_fma_f64 v[114:115], v[116:117], s[2:3], v[118:119]
	s_add_u32 s2, s12, 0x1a90
	s_addc_u32 s3, s13, 0
	v_fma_f64 v[12:13], v[20:21], s[18:19], v[12:13]
	v_fma_f64 v[20:21], v[20:21], s[18:19], v[112:113]
	;; [unrolled: 1-line block ×3, first 2 shown]
	v_add_f64 v[1:2], v[4:5], v[134:135]
	v_add_f64 v[3:4], v[6:7], v[136:137]
	v_fma_f64 v[22:23], v[22:23], s[18:19], v[114:115]
	s_clause 0x1
	scratch_store_b32 off, v0, off offset:4
	scratch_store_b128 off, v[1:4], off offset:1108
	ds_store_b128 v0, v[1:4] offset:1088
	s_clause 0x1
	scratch_store_b128 off, v[12:15], off offset:1140
	scratch_store_b128 off, v[8:11], off offset:1124
	ds_store_b128 v224, v[12:15] offset:2448
	ds_store_b128 v224, v[8:11] offset:3808
	s_clause 0x1
	scratch_store_b128 off, v[16:19], off offset:1156
	scratch_store_b128 off, v[20:23], off offset:1172
	ds_store_b128 v224, v[16:19] offset:5168
	ds_store_b128 v224, v[20:23] offset:6528
	s_waitcnt lgkmcnt(0)
	s_waitcnt_vscnt null, 0x0
	s_barrier
	buffer_gl0_inv
	s_clause 0x1
	global_load_b128 v[24:27], v225, s[2:3]
	global_load_b128 v[28:31], v225, s[2:3] offset:400
	ds_load_b128 v[32:35], v224
	ds_load_b128 v[36:39], v224 offset:400
	s_waitcnt vmcnt(1) lgkmcnt(1)
	v_mul_f64 v[40:41], v[34:35], v[26:27]
	v_mul_f64 v[26:27], v[32:33], v[26:27]
	s_delay_alu instid0(VALU_DEP_2) | instskip(NEXT) | instid1(VALU_DEP_2)
	v_fma_f64 v[40:41], v[32:33], v[24:25], -v[40:41]
	v_fma_f64 v[42:43], v[34:35], v[24:25], v[26:27]
	s_waitcnt vmcnt(0) lgkmcnt(0)
	v_mul_f64 v[24:25], v[38:39], v[30:31]
	v_mul_f64 v[26:27], v[36:37], v[30:31]
	s_delay_alu instid0(VALU_DEP_2) | instskip(NEXT) | instid1(VALU_DEP_2)
	v_fma_f64 v[24:25], v[36:37], v[28:29], -v[24:25]
	v_fma_f64 v[26:27], v[38:39], v[28:29], v[26:27]
	s_clause 0x1
	global_load_b128 v[28:31], v225, s[2:3] offset:800
	global_load_b128 v[32:35], v225, s[2:3] offset:1200
	ds_load_b128 v[36:39], v224 offset:800
	ds_load_b128 v[44:47], v224 offset:1200
	s_waitcnt vmcnt(1) lgkmcnt(1)
	v_mul_f64 v[48:49], v[38:39], v[30:31]
	v_mul_f64 v[30:31], v[36:37], v[30:31]
	s_delay_alu instid0(VALU_DEP_2) | instskip(NEXT) | instid1(VALU_DEP_2)
	v_fma_f64 v[36:37], v[36:37], v[28:29], -v[48:49]
	v_fma_f64 v[38:39], v[38:39], v[28:29], v[30:31]
	s_waitcnt vmcnt(0) lgkmcnt(0)
	v_mul_f64 v[28:29], v[46:47], v[34:35]
	v_mul_f64 v[30:31], v[44:45], v[34:35]
	s_delay_alu instid0(VALU_DEP_2) | instskip(NEXT) | instid1(VALU_DEP_2)
	v_fma_f64 v[28:29], v[44:45], v[32:33], -v[28:29]
	v_fma_f64 v[30:31], v[46:47], v[32:33], v[30:31]
	s_clause 0x1
	global_load_b128 v[32:35], v225, s[2:3] offset:1600
	global_load_b128 v[44:47], v225, s[2:3] offset:2000
	ds_load_b128 v[48:51], v224 offset:1600
	;; [unrolled: 17-line block ×4, first 2 shown]
	ds_load_b128 v[68:71], v224 offset:3600
	s_waitcnt vmcnt(1) lgkmcnt(1)
	v_mul_f64 v[76:77], v[66:67], v[34:35]
	v_mul_f64 v[34:35], v[64:65], v[34:35]
	s_delay_alu instid0(VALU_DEP_2) | instskip(NEXT) | instid1(VALU_DEP_2)
	v_fma_f64 v[64:65], v[64:65], v[32:33], -v[76:77]
	v_fma_f64 v[66:67], v[66:67], v[32:33], v[34:35]
	s_waitcnt vmcnt(0) lgkmcnt(0)
	v_mul_f64 v[34:35], v[68:69], v[46:47]
	v_mul_f64 v[32:33], v[70:71], v[46:47]
	s_delay_alu instid0(VALU_DEP_2) | instskip(SKIP_1) | instid1(VALU_DEP_1)
	v_fma_f64 v[70:71], v[70:71], v[44:45], v[34:35]
	v_add_co_u32 v34, s0, s2, v225
	v_add_co_ci_u32_e64 v35, null, s3, 0, s0
	s_delay_alu instid0(VALU_DEP_4) | instskip(NEXT) | instid1(VALU_DEP_3)
	v_fma_f64 v[68:69], v[68:69], v[44:45], -v[32:33]
	v_add_co_u32 v32, s0, 0x1000, v34
	s_delay_alu instid0(VALU_DEP_1)
	v_add_co_ci_u32_e64 v33, s0, 0, v35, s0
	s_clause 0x1
	global_load_b128 v[44:47], v225, s[2:3] offset:4000
	global_load_b128 v[76:79], v[32:33], off offset:304
	ds_load_b128 v[92:95], v224 offset:4000
	ds_load_b128 v[96:99], v224 offset:4400
	s_waitcnt vmcnt(1) lgkmcnt(1)
	v_mul_f64 v[100:101], v[94:95], v[46:47]
	v_mul_f64 v[46:47], v[92:93], v[46:47]
	s_delay_alu instid0(VALU_DEP_2) | instskip(NEXT) | instid1(VALU_DEP_2)
	v_fma_f64 v[92:93], v[92:93], v[44:45], -v[100:101]
	v_fma_f64 v[94:95], v[94:95], v[44:45], v[46:47]
	s_waitcnt vmcnt(0) lgkmcnt(0)
	v_mul_f64 v[44:45], v[98:99], v[78:79]
	v_mul_f64 v[46:47], v[96:97], v[78:79]
	s_delay_alu instid0(VALU_DEP_2) | instskip(NEXT) | instid1(VALU_DEP_2)
	v_fma_f64 v[44:45], v[96:97], v[76:77], -v[44:45]
	v_fma_f64 v[46:47], v[98:99], v[76:77], v[46:47]
	s_clause 0x1
	global_load_b128 v[76:79], v[32:33], off offset:704
	global_load_b128 v[96:99], v[32:33], off offset:1104
	ds_load_b128 v[100:103], v224 offset:4800
	ds_load_b128 v[104:107], v224 offset:5200
	s_waitcnt vmcnt(1) lgkmcnt(1)
	v_mul_f64 v[112:113], v[102:103], v[78:79]
	v_mul_f64 v[78:79], v[100:101], v[78:79]
	s_delay_alu instid0(VALU_DEP_2) | instskip(NEXT) | instid1(VALU_DEP_2)
	v_fma_f64 v[100:101], v[100:101], v[76:77], -v[112:113]
	v_fma_f64 v[102:103], v[102:103], v[76:77], v[78:79]
	s_waitcnt vmcnt(0) lgkmcnt(0)
	v_mul_f64 v[76:77], v[106:107], v[98:99]
	v_mul_f64 v[78:79], v[104:105], v[98:99]
	s_delay_alu instid0(VALU_DEP_2) | instskip(NEXT) | instid1(VALU_DEP_2)
	v_fma_f64 v[76:77], v[104:105], v[96:97], -v[76:77]
	v_fma_f64 v[78:79], v[106:107], v[96:97], v[78:79]
	s_clause 0x1
	global_load_b128 v[96:99], v[32:33], off offset:1504
	global_load_b128 v[104:107], v[32:33], off offset:1904
	ds_load_b128 v[124:127], v224 offset:5600
	ds_load_b128 v[128:131], v224 offset:6000
	s_waitcnt vmcnt(1) lgkmcnt(1)
	v_mul_f64 v[112:113], v[126:127], v[98:99]
	v_mul_f64 v[98:99], v[124:125], v[98:99]
	s_delay_alu instid0(VALU_DEP_2) | instskip(NEXT) | instid1(VALU_DEP_2)
	v_fma_f64 v[124:125], v[124:125], v[96:97], -v[112:113]
	v_fma_f64 v[126:127], v[126:127], v[96:97], v[98:99]
	s_waitcnt vmcnt(0) lgkmcnt(0)
	v_mul_f64 v[96:97], v[130:131], v[106:107]
	v_mul_f64 v[98:99], v[128:129], v[106:107]
	s_delay_alu instid0(VALU_DEP_2) | instskip(NEXT) | instid1(VALU_DEP_2)
	v_fma_f64 v[96:97], v[128:129], v[104:105], -v[96:97]
	v_fma_f64 v[98:99], v[130:131], v[104:105], v[98:99]
	global_load_b128 v[104:107], v[32:33], off offset:2304
	ds_load_b128 v[128:131], v224 offset:6400
	s_waitcnt vmcnt(0) lgkmcnt(0)
	v_mul_f64 v[112:113], v[130:131], v[106:107]
	v_mul_f64 v[106:107], v[128:129], v[106:107]
	s_delay_alu instid0(VALU_DEP_2) | instskip(NEXT) | instid1(VALU_DEP_2)
	v_fma_f64 v[128:129], v[128:129], v[104:105], -v[112:113]
	v_fma_f64 v[130:131], v[130:131], v[104:105], v[106:107]
	ds_store_b128 v224, v[40:43]
	ds_store_b128 v224, v[24:27] offset:400
	ds_store_b128 v224, v[36:39] offset:800
	ds_store_b128 v224, v[28:31] offset:1200
	ds_store_b128 v224, v[48:51] offset:1600
	ds_store_b128 v224, v[52:55] offset:2000
	ds_store_b128 v224, v[56:59] offset:2400
	ds_store_b128 v224, v[60:63] offset:2800
	ds_store_b128 v224, v[64:67] offset:3200
	ds_store_b128 v224, v[68:71] offset:3600
	ds_store_b128 v224, v[92:95] offset:4000
	ds_store_b128 v224, v[44:47] offset:4400
	ds_store_b128 v224, v[100:103] offset:4800
	ds_store_b128 v224, v[76:79] offset:5200
	ds_store_b128 v224, v[124:127] offset:5600
	ds_store_b128 v224, v[96:99] offset:6000
	ds_store_b128 v224, v[128:131] offset:6400
	s_and_saveexec_b32 s0, vcc_lo
	s_cbranch_execz .LBB0_9
; %bb.8:
	s_clause 0xd
	global_load_b128 v[36:39], v[34:35], off offset:272
	global_load_b128 v[24:27], v[34:35], off offset:672
	;; [unrolled: 1-line block ×14, first 2 shown]
	scratch_load_b32 v0, off, off           ; 4-byte Folded Reload
	s_waitcnt vmcnt(0)
	v_lshl_or_b32 v0, v0, 4, 0x1880
	s_clause 0x2
	global_load_b128 v[100:103], v[32:33], off offset:1776
	global_load_b128 v[104:107], v0, s[2:3]
	global_load_b128 v[32:35], v[32:33], off offset:2576
	scratch_load_b32 v0, off, off offset:4  ; 4-byte Folded Reload
	s_waitcnt vmcnt(0)
	ds_load_b128 v[124:127], v0 offset:272
	s_waitcnt lgkmcnt(0)
	v_mul_f64 v[112:113], v[126:127], v[38:39]
	v_mul_f64 v[38:39], v[124:125], v[38:39]
	s_delay_alu instid0(VALU_DEP_2) | instskip(NEXT) | instid1(VALU_DEP_2)
	v_fma_f64 v[124:125], v[124:125], v[36:37], -v[112:113]
	v_fma_f64 v[126:127], v[126:127], v[36:37], v[38:39]
	ds_store_b128 v0, v[124:127] offset:272
	ds_load_b128 v[36:39], v224 offset:672
	ds_load_b128 v[124:127], v224 offset:1072
	;; [unrolled: 1-line block ×7, first 2 shown]
	s_waitcnt lgkmcnt(6)
	v_mul_f64 v[116:117], v[38:39], v[26:27]
	v_mul_f64 v[26:27], v[36:37], v[26:27]
	s_waitcnt lgkmcnt(5)
	v_mul_f64 v[118:119], v[126:127], v[30:31]
	v_mul_f64 v[30:31], v[124:125], v[30:31]
	;; [unrolled: 3-line block ×3, first 2 shown]
	s_waitcnt lgkmcnt(3)
	v_mul_f64 v[122:123], v[134:135], v[46:47]
	s_waitcnt lgkmcnt(2)
	v_mul_f64 v[144:145], v[138:139], v[50:51]
	v_mul_f64 v[46:47], v[132:133], v[46:47]
	;; [unrolled: 1-line block ×3, first 2 shown]
	v_fma_f64 v[36:37], v[36:37], v[24:25], -v[116:117]
	v_fma_f64 v[38:39], v[38:39], v[24:25], v[26:27]
	ds_load_b128 v[24:27], v224 offset:3472
	s_waitcnt lgkmcnt(2)
	v_mul_f64 v[116:117], v[142:143], v[54:55]
	v_fma_f64 v[124:125], v[124:125], v[28:29], -v[118:119]
	v_fma_f64 v[126:127], v[126:127], v[28:29], v[30:31]
	v_mul_f64 v[54:55], v[140:141], v[54:55]
	ds_load_b128 v[28:31], v224 offset:3872
	s_waitcnt lgkmcnt(2)
	v_mul_f64 v[118:119], v[114:115], v[58:59]
	v_fma_f64 v[128:129], v[128:129], v[40:41], -v[120:121]
	v_fma_f64 v[130:131], v[130:131], v[40:41], v[42:43]
	ds_load_b128 v[40:43], v224 offset:4272
	v_mul_f64 v[58:59], v[112:113], v[58:59]
	v_fma_f64 v[132:133], v[132:133], v[44:45], -v[122:123]
	v_fma_f64 v[136:137], v[136:137], v[48:49], -v[144:145]
	v_fma_f64 v[134:135], v[134:135], v[44:45], v[46:47]
	ds_load_b128 v[44:47], v224 offset:4672
	v_fma_f64 v[138:139], v[138:139], v[48:49], v[50:51]
	s_waitcnt lgkmcnt(3)
	v_mul_f64 v[120:121], v[26:27], v[62:63]
	v_mul_f64 v[62:63], v[24:25], v[62:63]
	s_waitcnt lgkmcnt(2)
	v_mul_f64 v[122:123], v[30:31], v[66:67]
	v_mul_f64 v[66:67], v[28:29], v[66:67]
	;; [unrolled: 3-line block ×3, first 2 shown]
	v_fma_f64 v[48:49], v[140:141], v[52:53], -v[116:117]
	v_fma_f64 v[50:51], v[142:143], v[52:53], v[54:55]
	ds_load_b128 v[52:55], v224 offset:5072
	v_fma_f64 v[112:113], v[112:113], v[56:57], -v[118:119]
	s_waitcnt lgkmcnt(1)
	v_mul_f64 v[146:147], v[46:47], v[78:79]
	v_mul_f64 v[78:79], v[44:45], v[78:79]
	v_fma_f64 v[114:115], v[114:115], v[56:57], v[58:59]
	ds_load_b128 v[56:59], v224 offset:5472
	ds_load_b128 v[140:143], v224 offset:5872
	v_fma_f64 v[24:25], v[24:25], v[60:61], -v[120:121]
	v_fma_f64 v[26:27], v[26:27], v[60:61], v[62:63]
	ds_load_b128 v[60:63], v224 offset:6272
	ds_load_b128 v[116:119], v224 offset:6672
	s_waitcnt lgkmcnt(4)
	v_mul_f64 v[120:121], v[54:55], v[94:95]
	v_fma_f64 v[28:29], v[28:29], v[64:65], -v[122:123]
	v_fma_f64 v[30:31], v[30:31], v[64:65], v[66:67]
	v_mul_f64 v[64:65], v[52:53], v[94:95]
	v_fma_f64 v[40:41], v[40:41], v[68:69], -v[144:145]
	s_waitcnt lgkmcnt(3)
	v_mul_f64 v[66:67], v[58:59], v[98:99]
	v_mul_f64 v[94:95], v[56:57], v[98:99]
	s_waitcnt lgkmcnt(2)
	v_mul_f64 v[98:99], v[142:143], v[102:103]
	v_fma_f64 v[42:43], v[42:43], v[68:69], v[70:71]
	v_mul_f64 v[68:69], v[140:141], v[102:103]
	s_waitcnt lgkmcnt(1)
	v_mul_f64 v[70:71], v[62:63], v[106:107]
	v_mul_f64 v[102:103], v[60:61], v[106:107]
	s_waitcnt lgkmcnt(0)
	v_mul_f64 v[106:107], v[118:119], v[34:35]
	v_mul_f64 v[34:35], v[116:117], v[34:35]
	v_fma_f64 v[44:45], v[44:45], v[76:77], -v[146:147]
	v_fma_f64 v[46:47], v[46:47], v[76:77], v[78:79]
	v_fma_f64 v[52:53], v[52:53], v[92:93], -v[120:121]
	v_fma_f64 v[54:55], v[54:55], v[92:93], v[64:65]
	;; [unrolled: 2-line block ×6, first 2 shown]
	ds_store_b128 v224, v[36:39] offset:672
	ds_store_b128 v224, v[124:127] offset:1072
	;; [unrolled: 1-line block ×16, first 2 shown]
.LBB0_9:
	s_or_b32 exec_lo, exec_lo, s0
	s_waitcnt lgkmcnt(0)
	s_barrier
	buffer_gl0_inv
	ds_load_b128 v[24:27], v224
	ds_load_b128 v[128:131], v224 offset:400
	ds_load_b128 v[124:127], v224 offset:800
	;; [unrolled: 1-line block ×16, first 2 shown]
	s_and_saveexec_b32 s0, vcc_lo
	s_cbranch_execz .LBB0_11
; %bb.10:
	scratch_load_b32 v4, off, off offset:4  ; 4-byte Folded Reload
	s_waitcnt vmcnt(0)
	ds_load_b128 v[0:3], v4 offset:272
	s_waitcnt lgkmcnt(0)
	scratch_store_b128 off, v[0:3], off offset:1060 ; 16-byte Folded Spill
	ds_load_b128 v[0:3], v4 offset:672
	s_waitcnt lgkmcnt(0)
	scratch_store_b128 off, v[0:3], off offset:1092 ; 16-byte Folded Spill
	;; [unrolled: 3-line block ×17, first 2 shown]
.LBB0_11:
	s_or_b32 exec_lo, exec_lo, s0
	s_waitcnt lgkmcnt(15)
	v_add_f64 v[76:77], v[24:25], v[128:129]
	v_add_f64 v[78:79], v[26:27], v[130:131]
	s_waitcnt lgkmcnt(0)
	v_add_f64 v[112:113], v[130:131], -v[30:31]
	s_mov_b32 s8, 0x5d8e7cdc
	s_mov_b32 s9, 0xbfd71e95
	;; [unrolled: 1-line block ×4, first 2 shown]
	v_add_f64 v[140:141], v[128:129], -v[28:29]
	v_add_f64 v[136:137], v[124:125], v[100:101]
	v_add_f64 v[142:143], v[98:99], -v[106:107]
	v_add_f64 v[134:135], v[60:61], v[68:69]
	s_mov_b32 s36, 0x2a9d6da3
	s_mov_b32 s37, 0xbfe58eea
	;; [unrolled: 1-line block ×6, first 2 shown]
	v_add_f64 v[132:133], v[126:127], v[102:103]
	v_add_f64 v[138:139], v[126:127], -v[102:103]
	s_mov_b32 s38, 0x7c9e640b
	s_mov_b32 s39, 0xbfeca52d
	;; [unrolled: 1-line block ×19, first 2 shown]
	v_add_f64 v[76:77], v[76:77], v[124:125]
	v_add_f64 v[78:79], v[78:79], v[126:127]
	v_mul_f64 v[114:115], v[112:113], s[8:9]
	v_mul_f64 v[116:117], v[112:113], s[36:37]
	v_add_f64 v[126:127], v[96:97], v[104:105]
	v_mul_f64 v[118:119], v[112:113], s[38:39]
	v_mul_f64 v[120:121], v[112:113], s[30:31]
	;; [unrolled: 1-line block ×3, first 2 shown]
	s_mov_b32 s52, s40
	s_mov_b32 s18, 0x6ed5f1bb
	;; [unrolled: 1-line block ×7, first 2 shown]
	v_mul_f64 v[144:145], v[112:113], s[22:23]
	s_mov_b32 s16, 0x910ea3b9
	s_mov_b32 s14, 0x7faef3
	;; [unrolled: 1-line block ×10, first 2 shown]
	v_mul_f64 v[196:197], v[132:133], s[2:3]
	v_mul_f64 v[194:195], v[138:139], s[36:37]
	;; [unrolled: 1-line block ×9, first 2 shown]
	v_add_f64 v[76:77], v[76:77], v[96:97]
	v_add_f64 v[78:79], v[78:79], v[98:99]
	v_fma_f64 v[182:183], v[136:137], s[20:21], v[248:249]
	v_fma_f64 v[248:249], v[136:137], s[20:21], -v[248:249]
	v_fma_f64 v[227:228], v[126:127], s[28:29], v[208:209]
	v_fma_f64 v[208:209], v[126:127], s[28:29], -v[208:209]
	v_add_f64 v[76:77], v[76:77], v[60:61]
	v_add_f64 v[78:79], v[78:79], v[62:63]
	s_delay_alu instid0(VALU_DEP_2) | instskip(NEXT) | instid1(VALU_DEP_2)
	v_add_f64 v[76:77], v[76:77], v[52:53]
	v_add_f64 v[78:79], v[78:79], v[54:55]
	s_delay_alu instid0(VALU_DEP_2) | instskip(NEXT) | instid1(VALU_DEP_2)
	;; [unrolled: 3-line block ×9, first 2 shown]
	v_add_f64 v[92:93], v[76:77], v[68:69]
	v_add_f64 v[94:95], v[78:79], v[70:71]
	;; [unrolled: 1-line block ×4, first 2 shown]
	v_add_f64 v[128:129], v[124:125], -v[100:101]
	v_add_f64 v[124:125], v[98:99], v[106:107]
	v_add_f64 v[130:131], v[62:63], v[70:71]
	v_add_f64 v[98:99], v[54:55], -v[66:67]
	v_add_f64 v[92:93], v[92:93], v[104:105]
	v_add_f64 v[94:95], v[94:95], v[106:107]
	v_add_f64 v[106:107], v[60:61], -v[68:69]
	v_add_f64 v[68:69], v[54:55], v[66:67]
	v_add_f64 v[66:67], v[32:33], -v[36:37]
	v_fma_f64 v[146:147], v[78:79], s[0:1], v[114:115]
	v_fma_f64 v[114:115], v[78:79], s[0:1], -v[114:115]
	v_add_f64 v[104:105], v[96:97], -v[104:105]
	v_add_f64 v[96:97], v[52:53], v[64:65]
	v_add_f64 v[54:55], v[48:49], v[56:57]
	;; [unrolled: 1-line block ×3, first 2 shown]
	v_fma_f64 v[148:149], v[78:79], s[2:3], v[116:117]
	v_fma_f64 v[116:117], v[78:79], s[2:3], -v[116:117]
	v_fma_f64 v[150:151], v[78:79], s[20:21], v[118:119]
	v_fma_f64 v[118:119], v[78:79], s[20:21], -v[118:119]
	;; [unrolled: 2-line block ×4, first 2 shown]
	v_mul_f64 v[198:199], v[124:125], s[20:21]
	v_mul_f64 v[202:203], v[130:131], s[28:29]
	;; [unrolled: 1-line block ×12, first 2 shown]
	v_fma_f64 v[192:193], v[128:129], s[38:39], v[186:187]
	v_fma_f64 v[186:187], v[128:129], s[48:49], v[186:187]
	v_mul_f64 v[250:251], v[124:125], s[28:29]
	v_add_f64 v[92:93], v[92:93], v[100:101]
	v_add_f64 v[94:95], v[94:95], v[102:103]
	v_add_f64 v[100:101], v[62:63], -v[70:71]
	v_add_f64 v[70:71], v[32:33], v[36:37]
	v_mul_f64 v[32:33], v[76:77], s[0:1]
	v_add_f64 v[62:63], v[52:53], -v[64:65]
	v_add_f64 v[52:53], v[48:49], -v[56:57]
	;; [unrolled: 1-line block ×4, first 2 shown]
	v_add_f64 v[58:59], v[34:35], v[38:39]
	v_mul_f64 v[34:35], v[76:77], s[2:3]
	v_mul_f64 v[36:37], v[76:77], s[20:21]
	;; [unrolled: 1-line block ×3, first 2 shown]
	v_add_f64 v[48:49], v[42:43], v[46:47]
	v_add_f64 v[50:51], v[42:43], -v[46:47]
	v_add_f64 v[46:47], v[40:41], v[44:45]
	v_add_f64 v[44:45], v[40:41], -v[44:45]
	v_mul_f64 v[40:41], v[76:77], s[34:35]
	v_mul_f64 v[102:103], v[112:113], s[26:27]
	;; [unrolled: 1-line block ×4, first 2 shown]
	v_add_f64 v[150:151], v[24:25], v[150:151]
	v_add_f64 v[152:153], v[24:25], v[152:153]
	;; [unrolled: 1-line block ×3, first 2 shown]
	v_mul_f64 v[206:207], v[68:69], s[34:35]
	v_mul_f64 v[110:111], v[68:69], s[16:17]
	v_mul_f64 v[246:247], v[68:69], s[2:3]
	v_mul_f64 v[84:85], v[60:61], s[0:1]
	v_fma_f64 v[14:15], v[104:105], s[40:41], v[12:13]
	v_mul_f64 v[74:75], v[60:61], s[16:17]
	v_fma_f64 v[90:91], v[104:105], s[36:37], v[88:89]
	v_fma_f64 v[12:13], v[104:105], s[52:53], v[12:13]
	;; [unrolled: 1-line block ×5, first 2 shown]
	v_add_f64 v[0:1], v[92:93], v[28:29]
	v_add_f64 v[2:3], v[94:95], v[30:31]
	v_mul_f64 v[200:201], v[100:101], s[30:31]
	v_mul_f64 v[220:221], v[100:101], s[24:25]
	v_fma_f64 v[158:159], v[140:141], s[44:45], v[32:33]
	v_fma_f64 v[32:33], v[140:141], s[8:9], v[32:33]
	v_mul_f64 v[240:241], v[100:101], s[52:53]
	v_mul_f64 v[190:191], v[56:57], s[26:27]
	;; [unrolled: 1-line block ×4, first 2 shown]
	v_fma_f64 v[160:161], v[140:141], s[42:43], v[34:35]
	v_fma_f64 v[34:35], v[140:141], s[36:37], v[34:35]
	v_fma_f64 v[162:163], v[140:141], s[48:49], v[36:37]
	v_fma_f64 v[36:37], v[140:141], s[38:39], v[36:37]
	v_fma_f64 v[164:165], v[140:141], s[50:51], v[38:39]
	v_fma_f64 v[38:39], v[140:141], s[30:31], v[38:39]
	v_mul_f64 v[210:211], v[50:51], s[48:49]
	v_fma_f64 v[166:167], v[140:141], s[52:53], v[40:41]
	v_fma_f64 v[40:41], v[140:141], s[40:41], v[40:41]
	v_fma_f64 v[94:95], v[78:79], s[18:19], -v[102:103]
	v_fma_f64 v[92:93], v[78:79], s[18:19], v[102:103]
	v_fma_f64 v[102:103], v[78:79], s[16:17], v[144:145]
	v_fma_f64 v[144:145], v[78:79], s[16:17], -v[144:145]
	v_fma_f64 v[156:157], v[78:79], s[14:15], v[112:113]
	v_fma_f64 v[78:79], v[78:79], s[14:15], -v[112:113]
	v_mul_f64 v[112:113], v[76:77], s[16:17]
	v_fma_f64 v[168:169], v[140:141], s[46:47], v[42:43]
	v_fma_f64 v[42:43], v[140:141], s[26:27], v[42:43]
	v_mul_f64 v[76:77], v[76:77], s[14:15]
	v_mul_f64 v[72:73], v[56:57], s[22:23]
	;; [unrolled: 1-line block ×6, first 2 shown]
	scratch_store_b128 off, v[0:3], off offset:1188 ; 16-byte Folded Spill
	v_add_f64 v[0:1], v[24:25], v[114:115]
	v_fma_f64 v[22:23], v[96:97], s[20:21], v[28:29]
	v_add_f64 v[114:115], v[26:27], v[160:161]
	v_fma_f64 v[28:29], v[96:97], s[20:21], -v[28:29]
	v_add_f64 v[160:161], v[26:27], v[162:163]
	v_mul_f64 v[162:163], v[48:49], s[16:17]
	v_add_f64 v[164:165], v[26:27], v[164:165]
	v_add_f64 v[166:167], v[26:27], v[166:167]
	;; [unrolled: 1-line block ×4, first 2 shown]
	v_mul_f64 v[102:103], v[58:59], s[2:3]
	v_mul_f64 v[92:93], v[64:65], s[42:43]
	v_fma_f64 v[170:171], v[140:141], s[54:55], v[112:113]
	v_fma_f64 v[112:113], v[140:141], s[22:23], v[112:113]
	v_add_f64 v[4:5], v[26:27], v[168:169]
	v_fma_f64 v[172:173], v[140:141], s[56:57], v[76:77]
	v_fma_f64 v[76:77], v[140:141], s[24:25], v[76:77]
	v_add_f64 v[140:141], v[24:25], v[146:147]
	v_add_f64 v[146:147], v[26:27], v[158:159]
	v_mul_f64 v[158:159], v[60:61], s[18:19]
	scratch_store_b64 off, v[0:1], off offset:1276 ; 8-byte Folded Spill
	v_add_f64 v[0:1], v[26:27], v[32:33]
	v_add_f64 v[32:33], v[24:25], v[148:149]
	v_mul_f64 v[148:149], v[60:61], s[34:35]
	scratch_store_b64 off, v[0:1], off offset:1284 ; 8-byte Folded Spill
	v_add_f64 v[0:1], v[24:25], v[116:117]
	scratch_store_b64 off, v[0:1], off offset:1292 ; 8-byte Folded Spill
	v_add_f64 v[0:1], v[26:27], v[34:35]
	;; [unrolled: 2-line block ×4, first 2 shown]
	v_fma_f64 v[36:37], v[126:127], s[18:19], v[216:217]
	v_fma_f64 v[216:217], v[126:127], s[18:19], -v[216:217]
	scratch_store_b64 off, v[0:1], off offset:1316 ; 8-byte Folded Spill
	v_add_f64 v[0:1], v[24:25], v[120:121]
	scratch_store_b64 off, v[0:1], off offset:1324 ; 8-byte Folded Spill
	v_add_f64 v[0:1], v[26:27], v[38:39]
	;; [unrolled: 2-line block ×5, first 2 shown]
	v_mul_f64 v[94:95], v[50:51], s[30:31]
	scratch_store_b64 off, v[0:1], off offset:1356 ; 8-byte Folded Spill
	v_add_f64 v[0:1], v[26:27], v[42:43]
	v_fma_f64 v[2:3], v[46:47], s[28:29], v[94:95]
	scratch_store_b64 off, v[0:1], off offset:1364 ; 8-byte Folded Spill
	v_add_f64 v[0:1], v[26:27], v[170:171]
	scratch_store_b64 off, v[0:1], off offset:1396 ; 8-byte Folded Spill
	v_add_f64 v[0:1], v[24:25], v[144:145]
	v_mul_f64 v[144:145], v[48:49], s[28:29]
	scratch_store_b64 off, v[0:1], off offset:1372 ; 8-byte Folded Spill
	v_add_f64 v[0:1], v[26:27], v[112:113]
	v_fma_f64 v[6:7], v[44:45], s[50:51], v[144:145]
	scratch_store_b64 off, v[0:1], off offset:1380 ; 8-byte Folded Spill
	v_add_f64 v[0:1], v[24:25], v[156:157]
	v_mul_f64 v[156:157], v[64:65], s[22:23]
	scratch_store_b64 off, v[0:1], off offset:1388 ; 8-byte Folded Spill
	v_add_f64 v[0:1], v[26:27], v[172:173]
	v_fma_f64 v[10:11], v[70:71], s[16:17], v[156:157]
	scratch_store_b64 off, v[0:1], off offset:1252 ; 8-byte Folded Spill
	v_add_f64 v[0:1], v[24:25], v[78:79]
	v_fma_f64 v[24:25], v[136:137], s[2:3], v[194:195]
	v_mul_f64 v[78:79], v[56:57], s[8:9]
	v_fma_f64 v[194:195], v[136:137], s[2:3], -v[194:195]
	scratch_store_b64 off, v[0:1], off offset:1260 ; 8-byte Folded Spill
	v_add_f64 v[0:1], v[26:27], v[76:77]
	v_fma_f64 v[26:27], v[128:129], s[42:43], v[196:197]
	v_add_f64 v[24:25], v[24:25], v[140:141]
	v_mul_f64 v[140:141], v[48:49], s[20:21]
	v_mul_f64 v[76:77], v[64:65], s[26:27]
	v_fma_f64 v[196:197], v[128:129], s[36:37], v[196:197]
	scratch_store_b64 off, v[0:1], off offset:1268 ; 8-byte Folded Spill
	v_add_f64 v[26:27], v[26:27], v[146:147]
	v_mul_f64 v[146:147], v[142:143], s[38:39]
	v_mul_f64 v[0:1], v[50:51], s[22:23]
	s_delay_alu instid0(VALU_DEP_2)
	v_fma_f64 v[34:35], v[126:127], s[20:21], v[146:147]
	scratch_store_b64 off, v[0:1], off offset:1236 ; 8-byte Folded Spill
	v_fma_f64 v[146:147], v[126:127], s[20:21], -v[146:147]
	v_add_f64 v[24:25], v[34:35], v[24:25]
	v_fma_f64 v[34:35], v[104:105], s[48:49], v[198:199]
	v_fma_f64 v[198:199], v[104:105], s[38:39], v[198:199]
	s_delay_alu instid0(VALU_DEP_2) | instskip(SKIP_2) | instid1(VALU_DEP_2)
	v_add_f64 v[26:27], v[34:35], v[26:27]
	v_fma_f64 v[34:35], v[134:135], s[28:29], v[200:201]
	v_fma_f64 v[200:201], v[134:135], s[28:29], -v[200:201]
	v_add_f64 v[24:25], v[34:35], v[24:25]
	v_fma_f64 v[34:35], v[106:107], s[50:51], v[202:203]
	v_fma_f64 v[202:203], v[106:107], s[30:31], v[202:203]
	s_delay_alu instid0(VALU_DEP_2) | instskip(SKIP_2) | instid1(VALU_DEP_2)
	v_add_f64 v[26:27], v[34:35], v[26:27]
	v_fma_f64 v[34:35], v[96:97], s[34:35], v[204:205]
	v_fma_f64 v[204:205], v[96:97], s[34:35], -v[204:205]
	v_add_f64 v[24:25], v[34:35], v[24:25]
	v_fma_f64 v[34:35], v[62:63], s[52:53], v[206:207]
	s_delay_alu instid0(VALU_DEP_1) | instskip(SKIP_1) | instid1(VALU_DEP_1)
	v_add_f64 v[26:27], v[34:35], v[26:27]
	v_fma_f64 v[34:35], v[54:55], s[18:19], v[190:191]
	v_add_f64 v[24:25], v[34:35], v[24:25]
	v_fma_f64 v[34:35], v[52:53], s[46:47], v[158:159]
	s_delay_alu instid0(VALU_DEP_1) | instskip(SKIP_2) | instid1(VALU_DEP_2)
	v_add_f64 v[26:27], v[34:35], v[26:27]
	v_fma_f64 v[34:35], v[46:47], s[16:17], v[0:1]
	v_mul_f64 v[0:1], v[64:65], s[24:25]
	v_add_f64 v[24:25], v[34:35], v[24:25]
	v_fma_f64 v[34:35], v[44:45], s[54:55], v[162:163]
	scratch_store_b64 off, v[0:1], off offset:1212 ; 8-byte Folded Spill
	v_add_f64 v[26:27], v[34:35], v[26:27]
	v_fma_f64 v[34:35], v[70:71], s[14:15], v[0:1]
	v_mul_f64 v[0:1], v[58:59], s[14:15]
	s_delay_alu instid0(VALU_DEP_2) | instskip(NEXT) | instid1(VALU_DEP_2)
	v_add_f64 v[172:173], v[34:35], v[24:25]
	v_fma_f64 v[34:35], v[66:67], s[56:57], v[0:1]
	scratch_store_b64 off, v[0:1], off offset:1204 ; 8-byte Folded Spill
	v_mul_f64 v[0:1], v[64:65], s[44:45]
	v_add_f64 v[174:175], v[34:35], v[26:27]
	v_fma_f64 v[34:35], v[136:137], s[28:29], v[212:213]
	scratch_store_b64 off, v[0:1], off offset:1228 ; 8-byte Folded Spill
	v_mul_f64 v[26:27], v[98:99], s[24:25]
	v_fma_f64 v[212:213], v[136:137], s[28:29], -v[212:213]
	v_add_f64 v[32:33], v[34:35], v[32:33]
	v_fma_f64 v[34:35], v[128:129], s[50:51], v[214:215]
	v_fma_f64 v[214:215], v[128:129], s[30:31], v[214:215]
	s_delay_alu instid0(VALU_DEP_3) | instskip(NEXT) | instid1(VALU_DEP_3)
	v_add_f64 v[32:33], v[36:37], v[32:33]
	v_add_f64 v[34:35], v[34:35], v[114:115]
	v_fma_f64 v[36:37], v[104:105], s[46:47], v[218:219]
	v_fma_f64 v[218:219], v[104:105], s[26:27], v[218:219]
	s_delay_alu instid0(VALU_DEP_2) | instskip(SKIP_2) | instid1(VALU_DEP_2)
	v_add_f64 v[34:35], v[36:37], v[34:35]
	v_fma_f64 v[36:37], v[134:135], s[14:15], v[220:221]
	v_fma_f64 v[220:221], v[134:135], s[14:15], -v[220:221]
	v_add_f64 v[32:33], v[36:37], v[32:33]
	v_fma_f64 v[36:37], v[106:107], s[56:57], v[222:223]
	v_fma_f64 v[222:223], v[106:107], s[24:25], v[222:223]
	s_delay_alu instid0(VALU_DEP_2) | instskip(SKIP_2) | instid1(VALU_DEP_2)
	v_add_f64 v[34:35], v[36:37], v[34:35]
	v_fma_f64 v[36:37], v[96:97], s[16:17], v[108:109]
	v_fma_f64 v[108:109], v[96:97], s[16:17], -v[108:109]
	v_add_f64 v[32:33], v[36:37], v[32:33]
	v_fma_f64 v[36:37], v[62:63], s[22:23], v[110:111]
	v_fma_f64 v[110:111], v[62:63], s[54:55], v[110:111]
	s_delay_alu instid0(VALU_DEP_2) | instskip(SKIP_1) | instid1(VALU_DEP_1)
	v_add_f64 v[34:35], v[36:37], v[34:35]
	v_fma_f64 v[36:37], v[54:55], s[34:35], v[234:235]
	v_add_f64 v[32:33], v[36:37], v[32:33]
	v_fma_f64 v[36:37], v[52:53], s[40:41], v[148:149]
	s_delay_alu instid0(VALU_DEP_1) | instskip(SKIP_1) | instid1(VALU_DEP_1)
	v_add_f64 v[34:35], v[36:37], v[34:35]
	v_fma_f64 v[36:37], v[46:47], s[20:21], v[210:211]
	v_add_f64 v[32:33], v[36:37], v[32:33]
	v_fma_f64 v[36:37], v[44:45], s[38:39], v[140:141]
	s_delay_alu instid0(VALU_DEP_1) | instskip(SKIP_2) | instid1(VALU_DEP_2)
	v_add_f64 v[34:35], v[36:37], v[34:35]
	v_fma_f64 v[36:37], v[70:71], s[0:1], v[0:1]
	v_mul_f64 v[0:1], v[58:59], s[0:1]
	v_add_f64 v[168:169], v[36:37], v[32:33]
	s_delay_alu instid0(VALU_DEP_2)
	v_fma_f64 v[36:37], v[66:67], s[8:9], v[0:1]
	scratch_store_b64 off, v[0:1], off offset:1220 ; 8-byte Folded Spill
	v_mul_f64 v[0:1], v[58:59], s[16:17]
	v_mul_f64 v[32:33], v[68:69], s[20:21]
	v_add_f64 v[170:171], v[36:37], v[34:35]
	v_fma_f64 v[36:37], v[136:137], s[18:19], v[236:237]
	scratch_store_b64 off, v[0:1], off offset:1244 ; 8-byte Folded Spill
	v_mul_f64 v[34:35], v[56:57], s[50:51]
	v_fma_f64 v[236:237], v[136:137], s[18:19], -v[236:237]
	v_add_f64 v[36:37], v[36:37], v[150:151]
	v_mul_f64 v[150:151], v[132:133], s[18:19]
	s_delay_alu instid0(VALU_DEP_1) | instskip(SKIP_1) | instid1(VALU_DEP_2)
	v_fma_f64 v[38:39], v[128:129], s[46:47], v[150:151]
	v_fma_f64 v[150:151], v[128:129], s[26:27], v[150:151]
	v_add_f64 v[38:39], v[38:39], v[160:161]
	v_mul_f64 v[160:161], v[142:143], s[56:57]
	s_delay_alu instid0(VALU_DEP_1) | instskip(SKIP_1) | instid1(VALU_DEP_2)
	v_fma_f64 v[40:41], v[126:127], s[14:15], v[160:161]
	v_fma_f64 v[160:161], v[126:127], s[14:15], -v[160:161]
	v_add_f64 v[36:37], v[40:41], v[36:37]
	v_fma_f64 v[40:41], v[104:105], s[24:25], v[238:239]
	v_fma_f64 v[238:239], v[104:105], s[56:57], v[238:239]
	s_delay_alu instid0(VALU_DEP_2) | instskip(SKIP_2) | instid1(VALU_DEP_2)
	v_add_f64 v[38:39], v[40:41], v[38:39]
	v_fma_f64 v[40:41], v[134:135], s[34:35], v[240:241]
	v_fma_f64 v[240:241], v[134:135], s[34:35], -v[240:241]
	v_add_f64 v[36:37], v[40:41], v[36:37]
	v_fma_f64 v[40:41], v[106:107], s[40:41], v[242:243]
	v_fma_f64 v[242:243], v[106:107], s[52:53], v[242:243]
	s_delay_alu instid0(VALU_DEP_2) | instskip(SKIP_1) | instid1(VALU_DEP_1)
	v_add_f64 v[38:39], v[40:41], v[38:39]
	v_fma_f64 v[40:41], v[96:97], s[2:3], v[244:245]
	v_add_f64 v[36:37], v[40:41], v[36:37]
	v_fma_f64 v[40:41], v[62:63], s[36:37], v[246:247]
	s_delay_alu instid0(VALU_DEP_1) | instskip(SKIP_1) | instid1(VALU_DEP_1)
	v_add_f64 v[38:39], v[40:41], v[38:39]
	v_fma_f64 v[40:41], v[54:55], s[0:1], v[78:79]
	v_add_f64 v[36:37], v[40:41], v[36:37]
	v_fma_f64 v[40:41], v[52:53], s[44:45], v[84:85]
	v_fma_f64 v[84:85], v[52:53], s[8:9], v[84:85]
	s_delay_alu instid0(VALU_DEP_3) | instskip(NEXT) | instid1(VALU_DEP_3)
	v_add_f64 v[2:3], v[2:3], v[36:37]
	v_add_f64 v[38:39], v[40:41], v[38:39]
	v_mul_f64 v[36:37], v[60:61], s[28:29]
	s_delay_alu instid0(VALU_DEP_3) | instskip(NEXT) | instid1(VALU_DEP_3)
	v_add_f64 v[120:121], v[10:11], v[2:3]
	v_add_f64 v[6:7], v[6:7], v[38:39]
	v_fma_f64 v[10:11], v[66:67], s[54:55], v[0:1]
	v_mul_f64 v[0:1], v[100:101], s[44:45]
	v_mul_f64 v[2:3], v[130:131], s[20:21]
	;; [unrolled: 1-line block ×3, first 2 shown]
	s_delay_alu instid0(VALU_DEP_4) | instskip(SKIP_2) | instid1(VALU_DEP_2)
	v_add_f64 v[122:123], v[10:11], v[6:7]
	v_mul_f64 v[6:7], v[138:139], s[24:25]
	v_fma_f64 v[18:19], v[134:135], s[0:1], v[0:1]
	v_fma_f64 v[10:11], v[136:137], s[14:15], v[6:7]
	v_fma_f64 v[8:9], v[136:137], s[14:15], -v[6:7]
	s_delay_alu instid0(VALU_DEP_2) | instskip(SKIP_1) | instid1(VALU_DEP_1)
	v_add_f64 v[10:11], v[10:11], v[152:153]
	v_mul_f64 v[152:153], v[132:133], s[14:15]
	v_fma_f64 v[40:41], v[128:129], s[56:57], v[152:153]
	v_fma_f64 v[152:153], v[128:129], s[24:25], v[152:153]
	s_delay_alu instid0(VALU_DEP_2) | instskip(SKIP_1) | instid1(VALU_DEP_2)
	v_add_f64 v[40:41], v[40:41], v[164:165]
	v_mul_f64 v[164:165], v[142:143], s[52:53]
	v_add_f64 v[14:15], v[14:15], v[40:41]
	s_delay_alu instid0(VALU_DEP_2) | instskip(SKIP_3) | instid1(VALU_DEP_4)
	v_fma_f64 v[42:43], v[126:127], s[34:35], v[164:165]
	v_fma_f64 v[40:41], v[106:107], s[8:9], v[20:21]
	v_fma_f64 v[164:165], v[126:127], s[34:35], -v[164:165]
	v_fma_f64 v[20:21], v[106:107], s[44:45], v[20:21]
	v_add_f64 v[10:11], v[42:43], v[10:11]
	s_delay_alu instid0(VALU_DEP_4) | instskip(SKIP_4) | instid1(VALU_DEP_4)
	v_add_f64 v[14:15], v[40:41], v[14:15]
	v_fma_f64 v[40:41], v[62:63], s[48:49], v[32:33]
	v_fma_f64 v[42:43], v[66:67], s[36:37], v[102:103]
	;; [unrolled: 1-line block ×3, first 2 shown]
	v_add_f64 v[10:11], v[18:19], v[10:11]
	v_add_f64 v[14:15], v[40:41], v[14:15]
	v_fma_f64 v[40:41], v[54:55], s[16:17], v[72:73]
	v_fma_f64 v[72:73], v[54:55], s[16:17], -v[72:73]
	s_delay_alu instid0(VALU_DEP_4) | instskip(SKIP_1) | instid1(VALU_DEP_2)
	v_add_f64 v[10:11], v[22:23], v[10:11]
	v_fma_f64 v[22:23], v[134:135], s[0:1], -v[0:1]
	v_add_f64 v[10:11], v[40:41], v[10:11]
	v_fma_f64 v[40:41], v[52:53], s[54:55], v[74:75]
	v_fma_f64 v[74:75], v[52:53], s[22:23], v[74:75]
	s_delay_alu instid0(VALU_DEP_2) | instskip(SKIP_1) | instid1(VALU_DEP_1)
	v_add_f64 v[14:15], v[40:41], v[14:15]
	v_fma_f64 v[40:41], v[46:47], s[18:19], v[80:81]
	v_add_f64 v[10:11], v[40:41], v[10:11]
	v_fma_f64 v[40:41], v[44:45], s[26:27], v[229:230]
	s_delay_alu instid0(VALU_DEP_1) | instskip(SKIP_1) | instid1(VALU_DEP_2)
	v_add_f64 v[14:15], v[40:41], v[14:15]
	v_fma_f64 v[40:41], v[70:71], s[2:3], v[92:93]
	v_add_f64 v[118:119], v[42:43], v[14:15]
	v_mul_f64 v[14:15], v[138:139], s[54:55]
	s_delay_alu instid0(VALU_DEP_3) | instskip(SKIP_2) | instid1(VALU_DEP_4)
	v_add_f64 v[116:117], v[40:41], v[10:11]
	v_mul_f64 v[40:41], v[48:49], s[0:1]
	v_fma_f64 v[10:11], v[106:107], s[38:39], v[2:3]
	v_fma_f64 v[86:87], v[136:137], s[16:17], v[14:15]
	v_fma_f64 v[14:15], v[136:137], s[16:17], -v[14:15]
	s_delay_alu instid0(VALU_DEP_2) | instskip(SKIP_1) | instid1(VALU_DEP_1)
	v_add_f64 v[86:87], v[86:87], v[154:155]
	v_mul_f64 v[154:155], v[132:133], s[16:17]
	v_fma_f64 v[112:113], v[128:129], s[22:23], v[154:155]
	v_fma_f64 v[154:155], v[128:129], s[54:55], v[154:155]
	s_delay_alu instid0(VALU_DEP_2) | instskip(SKIP_1) | instid1(VALU_DEP_2)
	v_add_f64 v[112:113], v[112:113], v[166:167]
	v_mul_f64 v[166:167], v[142:143], s[42:43]
	v_add_f64 v[90:91], v[90:91], v[112:113]
	s_delay_alu instid0(VALU_DEP_2) | instskip(SKIP_3) | instid1(VALU_DEP_4)
	v_fma_f64 v[114:115], v[126:127], s[2:3], v[166:167]
	v_fma_f64 v[112:113], v[134:135], s[20:21], v[225:226]
	v_fma_f64 v[166:167], v[126:127], s[2:3], -v[166:167]
	v_fma_f64 v[225:226], v[134:135], s[20:21], -v[225:226]
	v_add_f64 v[86:87], v[114:115], v[86:87]
	s_delay_alu instid0(VALU_DEP_1) | instskip(SKIP_1) | instid1(VALU_DEP_1)
	v_add_f64 v[86:87], v[112:113], v[86:87]
	v_fma_f64 v[112:113], v[106:107], s[48:49], v[2:3]
	v_add_f64 v[90:91], v[112:113], v[90:91]
	v_fma_f64 v[112:113], v[96:97], s[14:15], v[26:27]
	v_fma_f64 v[26:27], v[96:97], s[14:15], -v[26:27]
	s_delay_alu instid0(VALU_DEP_2) | instskip(SKIP_2) | instid1(VALU_DEP_2)
	v_add_f64 v[86:87], v[112:113], v[86:87]
	v_fma_f64 v[112:113], v[62:63], s[56:57], v[30:31]
	v_fma_f64 v[30:31], v[62:63], s[24:25], v[30:31]
	v_add_f64 v[90:91], v[112:113], v[90:91]
	v_fma_f64 v[112:113], v[54:55], s[28:29], v[34:35]
	v_fma_f64 v[34:35], v[54:55], s[28:29], -v[34:35]
	s_delay_alu instid0(VALU_DEP_2) | instskip(SKIP_2) | instid1(VALU_DEP_2)
	v_add_f64 v[86:87], v[112:113], v[86:87]
	v_fma_f64 v[112:113], v[52:53], s[30:31], v[36:37]
	;; [unrolled: 7-line block ×3, first 2 shown]
	v_fma_f64 v[40:41], v[44:45], s[8:9], v[40:41]
	v_add_f64 v[90:91], v[112:113], v[90:91]
	v_fma_f64 v[112:113], v[70:71], s[18:19], v[76:77]
	v_fma_f64 v[76:77], v[70:71], s[18:19], -v[76:77]
	s_delay_alu instid0(VALU_DEP_2) | instskip(SKIP_1) | instid1(VALU_DEP_1)
	v_add_f64 v[112:113], v[112:113], v[86:87]
	v_mul_f64 v[86:87], v[58:59], s[18:19]
	v_fma_f64 v[114:115], v[66:67], s[46:47], v[86:87]
	v_fma_f64 v[86:87], v[66:67], s[26:27], v[86:87]
	s_delay_alu instid0(VALU_DEP_2) | instskip(SKIP_2) | instid1(VALU_DEP_2)
	v_add_f64 v[114:115], v[114:115], v[90:91]
	v_mul_f64 v[90:91], v[138:139], s[52:53]
	v_mul_f64 v[138:139], v[138:139], s[44:45]
	v_fma_f64 v[176:177], v[136:137], s[34:35], v[90:91]
	v_fma_f64 v[90:91], v[136:137], s[34:35], -v[90:91]
	s_delay_alu instid0(VALU_DEP_3) | instskip(SKIP_3) | instid1(VALU_DEP_2)
	v_fma_f64 v[184:185], v[136:137], s[0:1], v[138:139]
	v_fma_f64 v[136:137], v[136:137], s[0:1], -v[138:139]
	v_mul_f64 v[138:139], v[132:133], s[34:35]
	v_mul_f64 v[132:133], v[132:133], s[0:1]
	v_fma_f64 v[178:179], v[128:129], s[40:41], v[138:139]
	v_fma_f64 v[138:139], v[128:129], s[52:53], v[138:139]
	s_delay_alu instid0(VALU_DEP_3) | instskip(SKIP_3) | instid1(VALU_DEP_2)
	v_fma_f64 v[188:189], v[128:129], s[8:9], v[132:133]
	v_fma_f64 v[128:129], v[128:129], s[44:45], v[132:133]
	v_mul_f64 v[132:133], v[142:143], s[8:9]
	v_mul_f64 v[142:143], v[142:143], s[22:23]
	v_fma_f64 v[232:233], v[126:127], s[0:1], v[132:133]
	v_fma_f64 v[132:133], v[126:127], s[0:1], -v[132:133]
	s_delay_alu instid0(VALU_DEP_3) | instskip(SKIP_3) | instid1(VALU_DEP_2)
	v_fma_f64 v[82:83], v[126:127], s[16:17], v[142:143]
	v_fma_f64 v[126:127], v[126:127], s[16:17], -v[142:143]
	v_mul_f64 v[142:143], v[124:125], s[0:1]
	v_mul_f64 v[124:125], v[124:125], s[16:17]
	v_fma_f64 v[252:253], v[104:105], s[44:45], v[142:143]
	v_fma_f64 v[142:143], v[104:105], s[8:9], v[142:143]
	s_delay_alu instid0(VALU_DEP_3)
	v_fma_f64 v[18:19], v[104:105], s[54:55], v[124:125]
	v_fma_f64 v[104:105], v[104:105], s[22:23], v[124:125]
	v_add_f64 v[124:125], v[176:177], v[180:181]
	v_mul_f64 v[176:177], v[100:101], s[22:23]
	v_mul_f64 v[180:181], v[100:101], s[46:47]
	;; [unrolled: 1-line block ×3, first 2 shown]
	s_delay_alu instid0(VALU_DEP_4) | instskip(NEXT) | instid1(VALU_DEP_4)
	v_add_f64 v[124:125], v[232:233], v[124:125]
	v_fma_f64 v[0:1], v[134:135], s[16:17], v[176:177]
	v_fma_f64 v[176:177], v[134:135], s[16:17], -v[176:177]
	v_fma_f64 v[6:7], v[134:135], s[18:19], v[180:181]
	v_fma_f64 v[180:181], v[134:135], s[18:19], -v[180:181]
	;; [unrolled: 2-line block ×3, first 2 shown]
	v_add_f64 v[134:135], v[178:179], v[4:5]
	scratch_load_b64 v[4:5], off, off offset:1396 ; 8-byte Folded Reload
	v_add_f64 v[178:179], v[182:183], v[16:17]
	v_mul_f64 v[231:232], v[130:131], s[18:19]
	v_add_f64 v[0:1], v[0:1], v[124:125]
	v_mul_f64 v[124:125], v[98:99], s[50:51]
	v_add_f64 v[134:135], v[252:253], v[134:135]
	v_add_f64 v[178:179], v[227:228], v[178:179]
	v_mul_f64 v[227:228], v[98:99], s[8:9]
	v_mul_f64 v[98:99], v[98:99], s[26:27]
	s_delay_alu instid0(VALU_DEP_3) | instskip(NEXT) | instid1(VALU_DEP_2)
	v_add_f64 v[6:7], v[6:7], v[178:179]
	v_fma_f64 v[252:253], v[96:97], s[18:19], v[98:99]
	s_waitcnt vmcnt(0)
	v_add_f64 v[182:183], v[192:193], v[4:5]
	v_mul_f64 v[192:193], v[130:131], s[16:17]
	v_mul_f64 v[130:131], v[130:131], s[2:3]
	v_fma_f64 v[4:5], v[106:107], s[26:27], v[231:232]
	v_fma_f64 v[231:232], v[106:107], s[46:47], v[231:232]
	v_add_f64 v[182:183], v[254:255], v[182:183]
	v_fma_f64 v[2:3], v[106:107], s[54:55], v[192:193]
	v_fma_f64 v[192:193], v[106:107], s[22:23], v[192:193]
	;; [unrolled: 1-line block ×4, first 2 shown]
	s_clause 0x1
	scratch_load_b64 v[106:107], off, off offset:1276
	scratch_load_b64 v[130:131], off, off offset:1284
	v_add_f64 v[4:5], v[4:5], v[182:183]
	v_add_f64 v[2:3], v[2:3], v[134:135]
	v_mul_f64 v[134:135], v[68:69], s[28:29]
	s_waitcnt vmcnt(1)
	v_add_f64 v[106:107], v[194:195], v[106:107]
	s_waitcnt vmcnt(0)
	v_add_f64 v[130:131], v[196:197], v[130:131]
	s_clause 0x1
	scratch_load_b64 v[194:195], off, off offset:1292
	scratch_load_b64 v[196:197], off, off offset:1300
	v_add_f64 v[106:107], v[146:147], v[106:107]
	v_add_f64 v[130:131], v[198:199], v[130:131]
	s_waitcnt vmcnt(1)
	v_add_f64 v[194:195], v[212:213], v[194:195]
	s_waitcnt vmcnt(0)
	v_add_f64 v[196:197], v[214:215], v[196:197]
	s_clause 0x1
	scratch_load_b64 v[212:213], off, off offset:1308
	scratch_load_b64 v[214:215], off, off offset:1316
	v_add_f64 v[146:147], v[216:217], v[194:195]
	s_waitcnt vmcnt(1)
	v_add_f64 v[212:213], v[236:237], v[212:213]
	s_waitcnt vmcnt(0)
	v_add_f64 v[150:151], v[150:151], v[214:215]
	s_clause 0x1
	scratch_load_b64 v[214:215], off, off offset:1324
	scratch_load_b64 v[236:237], off, off offset:1380
	v_add_f64 v[160:161], v[160:161], v[212:213]
	v_add_f64 v[150:151], v[238:239], v[150:151]
	s_delay_alu instid0(VALU_DEP_2) | instskip(NEXT) | instid1(VALU_DEP_2)
	v_add_f64 v[160:161], v[240:241], v[160:161]
	v_add_f64 v[150:151], v[242:243], v[150:151]
	s_waitcnt vmcnt(1)
	v_add_f64 v[8:9], v[8:9], v[214:215]
	scratch_load_b64 v[214:215], off, off offset:1332 ; 8-byte Folded Reload
	s_waitcnt vmcnt(1)
	v_add_f64 v[186:187], v[186:187], v[236:237]
	scratch_load_b64 v[236:237], off, off offset:1388 ; 8-byte Folded Reload
	v_add_f64 v[8:9], v[164:165], v[8:9]
	s_delay_alu instid0(VALU_DEP_1) | instskip(NEXT) | instid1(VALU_DEP_1)
	v_add_f64 v[8:9], v[22:23], v[8:9]
	v_add_f64 v[8:9], v[28:29], v[8:9]
	s_delay_alu instid0(VALU_DEP_1)
	v_add_f64 v[8:9], v[72:73], v[8:9]
	s_waitcnt vmcnt(1)
	v_add_f64 v[152:153], v[152:153], v[214:215]
	scratch_load_b64 v[214:215], off, off offset:1340 ; 8-byte Folded Reload
	s_waitcnt vmcnt(1)
	v_add_f64 v[184:185], v[184:185], v[236:237]
	v_fma_f64 v[236:237], v[96:97], s[2:3], -v[244:245]
	v_fma_f64 v[244:245], v[96:97], s[28:29], v[124:125]
	v_fma_f64 v[124:125], v[96:97], s[28:29], -v[124:125]
	v_add_f64 v[12:13], v[12:13], v[152:153]
	v_fma_f64 v[152:153], v[62:63], s[30:31], v[134:135]
	v_add_f64 v[82:83], v[82:83], v[184:185]
	v_fma_f64 v[134:135], v[62:63], s[50:51], v[134:135]
	v_add_f64 v[0:1], v[244:245], v[0:1]
	v_add_f64 v[12:13], v[20:21], v[12:13]
	;; [unrolled: 1-line block ×3, first 2 shown]
	v_mul_f64 v[152:153], v[68:69], s[0:1]
	v_mul_f64 v[68:69], v[68:69], s[18:19]
	v_add_f64 v[24:25], v[24:25], v[82:83]
	v_mul_f64 v[82:83], v[50:51], s[42:43]
	v_add_f64 v[12:13], v[32:33], v[12:13]
	v_mul_f64 v[32:33], v[56:57], s[48:49]
	s_delay_alu instid0(VALU_DEP_4) | instskip(NEXT) | instid1(VALU_DEP_3)
	v_add_f64 v[24:25], v[252:253], v[24:25]
	v_add_f64 v[12:13], v[74:75], v[12:13]
	v_fma_f64 v[74:75], v[44:45], s[46:47], v[229:230]
	s_delay_alu instid0(VALU_DEP_1)
	v_add_f64 v[12:13], v[74:75], v[12:13]
	v_fma_f64 v[74:75], v[70:71], s[16:17], -v[156:157]
	s_waitcnt vmcnt(0)
	v_add_f64 v[14:15], v[14:15], v[214:215]
	scratch_load_b64 v[214:215], off, off offset:1348 ; 8-byte Folded Reload
	v_add_f64 v[14:15], v[166:167], v[14:15]
	s_delay_alu instid0(VALU_DEP_1) | instskip(NEXT) | instid1(VALU_DEP_1)
	v_add_f64 v[14:15], v[225:226], v[14:15]
	v_add_f64 v[14:15], v[26:27], v[14:15]
	s_delay_alu instid0(VALU_DEP_1) | instskip(SKIP_1) | instid1(VALU_DEP_2)
	v_add_f64 v[14:15], v[34:35], v[14:15]
	v_fma_f64 v[34:35], v[44:45], s[22:23], v[162:163]
	v_add_f64 v[14:15], v[38:39], v[14:15]
	v_mul_f64 v[38:39], v[64:65], s[48:49]
	s_delay_alu instid0(VALU_DEP_2)
	v_add_f64 v[76:77], v[76:77], v[14:15]
	s_waitcnt vmcnt(0)
	v_add_f64 v[154:155], v[154:155], v[214:215]
	scratch_load_b64 v[214:215], off, off offset:1356 ; 8-byte Folded Reload
	v_add_f64 v[88:89], v[88:89], v[154:155]
	v_fma_f64 v[154:155], v[62:63], s[44:45], v[152:153]
	s_delay_alu instid0(VALU_DEP_2) | instskip(NEXT) | instid1(VALU_DEP_2)
	v_add_f64 v[10:11], v[10:11], v[88:89]
	v_add_f64 v[4:5], v[154:155], v[4:5]
	v_mul_f64 v[154:155], v[56:57], s[36:37]
	s_delay_alu instid0(VALU_DEP_3) | instskip(NEXT) | instid1(VALU_DEP_2)
	v_add_f64 v[10:11], v[30:31], v[10:11]
	v_fma_f64 v[164:165], v[54:55], s[2:3], v[154:155]
	s_delay_alu instid0(VALU_DEP_2) | instskip(SKIP_1) | instid1(VALU_DEP_3)
	v_add_f64 v[10:11], v[36:37], v[10:11]
	v_fma_f64 v[36:37], v[46:47], s[20:21], -v[210:211]
	v_add_f64 v[0:1], v[164:165], v[0:1]
	v_mul_f64 v[164:165], v[60:61], s[2:3]
	s_delay_alu instid0(VALU_DEP_4) | instskip(SKIP_1) | instid1(VALU_DEP_3)
	v_add_f64 v[10:11], v[40:41], v[10:11]
	v_mul_f64 v[40:41], v[58:59], s[20:21]
	v_fma_f64 v[166:167], v[52:53], s[42:43], v[164:165]
	s_delay_alu instid0(VALU_DEP_1) | instskip(SKIP_2) | instid1(VALU_DEP_2)
	v_add_f64 v[2:3], v[166:167], v[2:3]
	v_mul_f64 v[166:167], v[56:57], s[24:25]
	v_fma_f64 v[56:57], v[54:55], s[34:35], -v[234:235]
	v_fma_f64 v[178:179], v[54:55], s[14:15], v[166:167]
	s_waitcnt vmcnt(0)
	v_add_f64 v[90:91], v[90:91], v[214:215]
	scratch_load_b64 v[214:215], off, off offset:1364 ; 8-byte Folded Reload
	v_add_f64 v[90:91], v[132:133], v[90:91]
	s_delay_alu instid0(VALU_DEP_1) | instskip(NEXT) | instid1(VALU_DEP_1)
	v_add_f64 v[20:21], v[176:177], v[90:91]
	v_add_f64 v[20:21], v[124:125], v[20:21]
	s_waitcnt vmcnt(0)
	v_add_f64 v[138:139], v[138:139], v[214:215]
	scratch_load_b64 v[214:215], off, off offset:1372 ; 8-byte Folded Reload
	v_add_f64 v[132:133], v[142:143], v[138:139]
	v_add_f64 v[142:143], v[250:251], v[186:187]
	s_delay_alu instid0(VALU_DEP_2) | instskip(NEXT) | instid1(VALU_DEP_2)
	v_add_f64 v[22:23], v[192:193], v[132:133]
	v_add_f64 v[90:91], v[231:232], v[142:143]
	s_delay_alu instid0(VALU_DEP_2)
	v_add_f64 v[22:23], v[134:135], v[22:23]
	s_waitcnt vmcnt(0)
	v_add_f64 v[214:215], v[248:249], v[214:215]
	v_fma_f64 v[248:249], v[96:97], s[0:1], v[227:228]
	v_fma_f64 v[227:228], v[96:97], s[0:1], -v[227:228]
	v_fma_f64 v[96:97], v[96:97], s[18:19], -v[98:99]
	scratch_load_b64 v[98:99], off, off offset:1252 ; 8-byte Folded Reload
	v_add_f64 v[138:139], v[208:209], v[214:215]
	v_add_f64 v[6:7], v[248:249], v[6:7]
	s_delay_alu instid0(VALU_DEP_2) | instskip(NEXT) | instid1(VALU_DEP_2)
	v_add_f64 v[88:89], v[180:181], v[138:139]
	v_add_f64 v[6:7], v[178:179], v[6:7]
	v_mul_f64 v[178:179], v[60:61], s[14:15]
	s_delay_alu instid0(VALU_DEP_3) | instskip(SKIP_1) | instid1(VALU_DEP_3)
	v_add_f64 v[26:27], v[227:228], v[88:89]
	v_fma_f64 v[88:89], v[54:55], s[14:15], -v[166:167]
	v_fma_f64 v[182:183], v[52:53], s[56:57], v[178:179]
	v_fma_f64 v[124:125], v[52:53], s[24:25], v[178:179]
	s_delay_alu instid0(VALU_DEP_3) | instskip(NEXT) | instid1(VALU_DEP_3)
	v_add_f64 v[26:27], v[88:89], v[26:27]
	v_add_f64 v[4:5], v[182:183], v[4:5]
	v_mul_f64 v[182:183], v[50:51], s[24:25]
	v_mul_f64 v[50:51], v[50:51], s[40:41]
	s_delay_alu instid0(VALU_DEP_2) | instskip(NEXT) | instid1(VALU_DEP_2)
	v_fma_f64 v[184:185], v[46:47], s[14:15], v[182:183]
	v_fma_f64 v[72:73], v[46:47], s[34:35], v[50:51]
	s_delay_alu instid0(VALU_DEP_2) | instskip(SKIP_1) | instid1(VALU_DEP_1)
	v_add_f64 v[0:1], v[184:185], v[0:1]
	v_mul_f64 v[184:185], v[48:49], s[14:15]
	v_fma_f64 v[186:187], v[44:45], s[56:57], v[184:185]
	s_delay_alu instid0(VALU_DEP_1) | instskip(SKIP_4) | instid1(VALU_DEP_1)
	v_add_f64 v[2:3], v[186:187], v[2:3]
	s_waitcnt vmcnt(0)
	v_add_f64 v[98:99], v[188:189], v[98:99]
	scratch_load_b64 v[188:189], off, off offset:1260 ; 8-byte Folded Reload
	v_add_f64 v[18:19], v[18:19], v[98:99]
	v_add_f64 v[16:17], v[16:17], v[18:19]
	s_waitcnt vmcnt(0)
	v_add_f64 v[136:137], v[136:137], v[188:189]
	scratch_load_b64 v[188:189], off, off offset:1268 ; 8-byte Folded Reload
	v_add_f64 v[98:99], v[126:127], v[136:137]
	v_fma_f64 v[136:137], v[62:63], s[8:9], v[152:153]
	v_fma_f64 v[126:127], v[62:63], s[40:41], v[206:207]
	;; [unrolled: 1-line block ×3, first 2 shown]
	s_delay_alu instid0(VALU_DEP_4) | instskip(NEXT) | instid1(VALU_DEP_4)
	v_add_f64 v[18:19], v[100:101], v[98:99]
	v_add_f64 v[28:29], v[136:137], v[90:91]
	v_fma_f64 v[90:91], v[54:55], s[20:21], v[32:33]
	v_fma_f64 v[32:33], v[54:55], s[20:21], -v[32:33]
	v_fma_f64 v[98:99], v[46:47], s[2:3], v[82:83]
	v_add_f64 v[16:17], v[152:153], v[16:17]
	v_add_f64 v[18:19], v[96:97], v[18:19]
	v_fma_f64 v[96:97], v[52:53], s[52:53], v[148:149]
	v_add_f64 v[24:25], v[90:91], v[24:25]
	v_add_f64 v[28:29], v[124:125], v[28:29]
	;; [unrolled: 1-line block ×4, first 2 shown]
	scratch_load_b64 v[32:33], off, off offset:1236 ; 8-byte Folded Reload
	v_add_f64 v[24:25], v[72:73], v[24:25]
	s_waitcnt vmcnt(1)
	v_add_f64 v[128:129], v[128:129], v[188:189]
	v_add_f64 v[188:189], v[218:219], v[196:197]
	s_delay_alu instid0(VALU_DEP_2)
	v_add_f64 v[104:105], v[104:105], v[128:129]
	v_fma_f64 v[128:129], v[62:63], s[42:43], v[246:247]
	v_fma_f64 v[62:63], v[62:63], s[26:27], v[68:69]
	v_add_f64 v[68:69], v[200:201], v[106:107]
	v_add_f64 v[106:107], v[202:203], v[130:131]
	;; [unrolled: 1-line block ×9, first 2 shown]
	v_fma_f64 v[110:111], v[52:53], s[36:37], v[164:165]
	v_add_f64 v[108:109], v[128:129], v[150:151]
	v_add_f64 v[106:107], v[236:237], v[160:161]
	;; [unrolled: 1-line block ×3, first 2 shown]
	v_fma_f64 v[42:43], v[54:55], s[18:19], -v[190:191]
	v_fma_f64 v[62:63], v[54:55], s[0:1], -v[78:79]
	;; [unrolled: 1-line block ×3, first 2 shown]
	v_mul_f64 v[54:55], v[60:61], s[20:21]
	v_fma_f64 v[60:61], v[52:53], s[26:27], v[158:159]
	v_add_f64 v[56:57], v[56:57], v[100:101]
	v_add_f64 v[22:23], v[110:111], v[22:23]
	;; [unrolled: 1-line block ×3, first 2 shown]
	v_fma_f64 v[108:109], v[66:67], s[42:43], v[102:103]
	s_waitcnt vmcnt(0)
	v_fma_f64 v[32:33], v[46:47], s[16:17], -v[32:33]
	v_add_f64 v[42:43], v[42:43], v[68:69]
	v_add_f64 v[68:69], v[96:97], v[104:105]
	;; [unrolled: 1-line block ×3, first 2 shown]
	v_fma_f64 v[126:127], v[52:53], s[38:39], v[54:55]
	v_fma_f64 v[52:53], v[52:53], s[48:49], v[54:55]
	v_mul_f64 v[54:55], v[48:49], s[2:3]
	v_add_f64 v[60:61], v[60:61], v[98:99]
	v_mul_f64 v[48:49], v[48:49], s[34:35]
	v_add_f64 v[36:37], v[36:37], v[56:57]
	v_fma_f64 v[56:57], v[46:47], s[18:19], -v[80:81]
	v_fma_f64 v[78:79], v[44:45], s[24:25], v[184:185]
	v_add_f64 v[62:63], v[62:63], v[106:107]
	v_add_f64 v[32:33], v[32:33], v[42:43]
	v_fma_f64 v[42:43], v[44:45], s[48:49], v[140:141]
	v_add_f64 v[16:17], v[126:127], v[16:17]
	v_add_f64 v[30:31], v[52:53], v[30:31]
	v_fma_f64 v[128:129], v[44:45], s[36:37], v[54:55]
	v_add_f64 v[34:35], v[34:35], v[60:61]
	v_fma_f64 v[52:53], v[46:47], s[28:29], -v[94:95]
	v_fma_f64 v[60:61], v[46:47], s[14:15], -v[182:183]
	v_fma_f64 v[54:55], v[44:45], s[42:43], v[54:55]
	v_fma_f64 v[80:81], v[44:45], s[52:53], v[48:49]
	v_add_f64 v[8:9], v[56:57], v[8:9]
	v_mul_f64 v[56:57], v[58:59], s[28:29]
	v_add_f64 v[22:23], v[78:79], v[22:23]
	v_fma_f64 v[78:79], v[70:71], s[2:3], -v[92:93]
	v_add_f64 v[42:43], v[42:43], v[68:69]
	v_fma_f64 v[68:69], v[46:47], s[2:3], -v[82:83]
	v_fma_f64 v[46:47], v[46:47], s[34:35], -v[50:51]
	v_fma_f64 v[50:51], v[44:45], s[30:31], v[144:145]
	v_fma_f64 v[44:45], v[44:45], s[40:41], v[48:49]
	v_add_f64 v[4:5], v[128:129], v[4:5]
	v_add_f64 v[62:63], v[52:53], v[62:63]
	v_mul_f64 v[48:49], v[64:65], s[40:41]
	v_mul_f64 v[52:53], v[64:65], s[50:51]
	v_add_f64 v[28:29], v[54:55], v[28:29]
	v_fma_f64 v[54:55], v[70:71], s[20:21], v[38:39]
	v_add_f64 v[20:21], v[60:61], v[20:21]
	v_add_f64 v[16:17], v[80:81], v[16:17]
	v_fma_f64 v[88:89], v[66:67], s[30:31], v[56:57]
	v_fma_f64 v[38:39], v[70:71], s[20:21], -v[38:39]
	v_fma_f64 v[90:91], v[66:67], s[50:51], v[56:57]
	v_add_f64 v[26:27], v[68:69], v[26:27]
	v_add_f64 v[18:19], v[46:47], v[18:19]
	;; [unrolled: 1-line block ×4, first 2 shown]
	scratch_load_b64 v[44:45], off, off offset:1212 ; 8-byte Folded Reload
	v_mul_f64 v[50:51], v[58:59], s[34:35]
	v_fma_f64 v[58:59], v[66:67], s[38:39], v[40:41]
	v_fma_f64 v[60:61], v[70:71], s[34:35], v[48:49]
	;; [unrolled: 1-line block ×3, first 2 shown]
	v_fma_f64 v[80:81], v[70:71], s[34:35], -v[48:49]
	v_fma_f64 v[40:41], v[66:67], s[48:49], v[40:41]
	v_add_f64 v[102:103], v[88:89], v[16:17]
	v_add_f64 v[92:93], v[38:39], v[20:21]
	;; [unrolled: 1-line block ×3, first 2 shown]
	v_fma_f64 v[64:65], v[66:67], s[52:53], v[50:51]
	v_fma_f64 v[94:95], v[66:67], s[40:41], v[50:51]
	v_add_f64 v[46:47], v[58:59], v[2:3]
	v_add_f64 v[48:49], v[60:61], v[6:7]
	;; [unrolled: 1-line block ×8, first 2 shown]
	v_add_nc_u32_e32 v65, 0x330, v224
	v_add_nc_u32_e32 v64, 0x440, v224
	s_waitcnt vmcnt(0)
	v_fma_f64 v[68:69], v[70:71], s[14:15], -v[44:45]
	scratch_load_b64 v[44:45], off, off offset:1228 ; 8-byte Folded Reload
	s_waitcnt vmcnt(0)
	v_fma_f64 v[72:73], v[70:71], s[0:1], -v[44:45]
	scratch_load_b64 v[44:45], off, off offset:1244 ; 8-byte Folded Reload
	v_fma_f64 v[70:71], v[70:71], s[28:29], -v[52:53]
	v_add_f64 v[52:53], v[68:69], v[32:33]
	v_add_f64 v[56:57], v[72:73], v[36:37]
	s_delay_alu instid0(VALU_DEP_3)
	v_add_f64 v[104:105], v[70:71], v[18:19]
	v_add_f64 v[69:70], v[108:109], v[12:13]
	s_waitcnt vmcnt(0)
	v_fma_f64 v[110:111], v[66:67], s[22:23], v[44:45]
	scratch_load_b64 v[44:45], off, off offset:1220 ; 8-byte Folded Reload
	v_add_f64 v[62:63], v[110:111], v[82:83]
	s_waitcnt vmcnt(0)
	v_fma_f64 v[124:125], v[66:67], s[44:45], v[44:45]
	scratch_load_b64 v[44:45], off, off offset:1204 ; 8-byte Folded Reload
	s_waitcnt vmcnt(0)
	s_waitcnt_vscnt null, 0x0
	s_barrier
	buffer_gl0_inv
	v_add_f64 v[58:59], v[124:125], v[42:43]
	v_fma_f64 v[126:127], v[66:67], s[24:25], v[44:45]
	v_add_f64 v[44:45], v[54:55], v[0:1]
	s_clause 0x1
	scratch_load_b32 v0, off, off offset:1056
	scratch_load_b128 v[1:4], off, off offset:1188
	v_add_f64 v[67:68], v[78:79], v[8:9]
	v_add_f64 v[78:79], v[86:87], v[10:11]
	v_add_nc_u32_e32 v66, 0x220, v224
	v_add_f64 v[54:55], v[126:127], v[34:35]
	s_waitcnt vmcnt(0)
	ds_store_b128 v0, v[1:4]
	ds_store_b128 v0, v[172:175] offset:16
	ds_store_b128 v0, v[168:171] offset:32
	;; [unrolled: 1-line block ×16, first 2 shown]
	s_and_saveexec_b32 s33, vcc_lo
	s_cbranch_execz .LBB0_13
; %bb.12:
	s_clause 0x10
	scratch_load_b128 v[145:148], off, off offset:1060
	scratch_load_b128 v[58:61], off, off offset:1092
	;; [unrolled: 1-line block ×17, first 2 shown]
	s_waitcnt vmcnt(15)
	v_add_f64 v[0:1], v[147:148], v[60:61]
	v_add_f64 v[2:3], v[145:146], v[58:59]
	s_waitcnt vmcnt(7)
	v_add_f64 v[28:29], v[12:13], -v[16:17]
	s_waitcnt vmcnt(6)
	v_add_f64 v[32:33], v[36:37], -v[20:21]
	v_add_f64 v[30:31], v[14:15], -v[18:19]
	v_add_f64 v[26:27], v[14:15], v[18:19]
	v_add_f64 v[24:25], v[12:13], v[16:17]
	v_add_f64 v[40:41], v[38:39], -v[22:23]
	s_waitcnt vmcnt(1)
	v_add_f64 v[4:5], v[58:59], -v[109:110]
	v_add_f64 v[6:7], v[60:61], -v[111:112]
	v_add_f64 v[8:9], v[60:61], v[111:112]
	v_add_f64 v[34:35], v[105:106], -v[50:51]
	v_add_f64 v[42:43], v[75:76], -v[71:72]
	;; [unrolled: 1-line block ×4, first 2 shown]
	v_add_f64 v[48:49], v[107:108], v[52:53]
	v_add_f64 v[44:45], v[105:106], v[50:51]
	v_add_f64 v[60:61], v[103:104], -v[83:84]
	v_add_f64 v[54:55], v[77:78], v[73:74]
	v_add_f64 v[79:80], v[99:100], v[91:92]
	s_waitcnt vmcnt(0)
	v_add_f64 v[69:70], v[93:94], -v[85:86]
	v_add_f64 v[67:68], v[97:98], -v[89:90]
	v_add_f64 v[0:1], v[0:1], v[95:96]
	v_add_f64 v[2:3], v[2:3], v[93:94]
	v_mul_f64 v[153:154], v[28:29], s[50:51]
	v_mul_f64 v[155:156], v[30:31], s[50:51]
	;; [unrolled: 1-line block ×10, first 2 shown]
	v_add_f64 v[0:1], v[0:1], v[99:100]
	v_add_f64 v[2:3], v[2:3], v[97:98]
	v_fma_f64 v[197:198], v[79:80], s[34:35], v[189:190]
	v_fma_f64 v[189:190], v[79:80], s[34:35], -v[189:190]
	v_fma_f64 v[199:200], v[79:80], s[14:15], -v[191:192]
	v_fma_f64 v[191:192], v[79:80], s[14:15], v[191:192]
	v_fma_f64 v[201:202], v[79:80], s[18:19], -v[193:194]
	v_fma_f64 v[193:194], v[79:80], s[18:19], v[193:194]
	v_add_f64 v[0:1], v[0:1], v[103:104]
	v_add_f64 v[2:3], v[2:3], v[101:102]
	s_delay_alu instid0(VALU_DEP_2) | instskip(NEXT) | instid1(VALU_DEP_2)
	v_add_f64 v[0:1], v[0:1], v[77:78]
	v_add_f64 v[2:3], v[2:3], v[75:76]
	s_delay_alu instid0(VALU_DEP_2) | instskip(NEXT) | instid1(VALU_DEP_2)
	v_add_f64 v[0:1], v[0:1], v[107:108]
	v_add_f64 v[2:3], v[2:3], v[105:106]
	s_delay_alu instid0(VALU_DEP_2) | instskip(NEXT) | instid1(VALU_DEP_2)
	v_add_f64 v[0:1], v[0:1], v[38:39]
	v_add_f64 v[2:3], v[2:3], v[36:37]
	;; [unrolled: 1-line block ×4, first 2 shown]
	s_delay_alu instid0(VALU_DEP_4) | instskip(NEXT) | instid1(VALU_DEP_4)
	v_add_f64 v[0:1], v[0:1], v[14:15]
	v_add_f64 v[2:3], v[2:3], v[12:13]
	v_mul_f64 v[12:13], v[4:5], s[22:23]
	v_mul_f64 v[14:15], v[4:5], s[26:27]
	s_delay_alu instid0(VALU_DEP_4) | instskip(NEXT) | instid1(VALU_DEP_4)
	v_add_f64 v[0:1], v[0:1], v[18:19]
	v_add_f64 v[2:3], v[2:3], v[16:17]
	v_mul_f64 v[16:17], v[4:5], s[40:41]
	v_mul_f64 v[18:19], v[4:5], s[30:31]
	s_delay_alu instid0(VALU_DEP_4) | instskip(NEXT) | instid1(VALU_DEP_4)
	v_add_f64 v[0:1], v[0:1], v[22:23]
	v_add_f64 v[2:3], v[2:3], v[20:21]
	v_mul_f64 v[22:23], v[4:5], s[38:39]
	v_mul_f64 v[4:5], v[4:5], s[8:9]
	v_fma_f64 v[105:106], v[8:9], s[34:35], v[16:17]
	v_fma_f64 v[16:17], v[8:9], s[34:35], -v[16:17]
	v_fma_f64 v[107:108], v[8:9], s[28:29], v[18:19]
	v_fma_f64 v[18:19], v[8:9], s[28:29], -v[18:19]
	v_add_f64 v[0:1], v[0:1], v[52:53]
	v_add_f64 v[2:3], v[2:3], v[50:51]
	v_add_f64 v[52:53], v[77:78], -v[73:74]
	v_add_f64 v[50:51], v[75:76], v[71:72]
	v_add_f64 v[75:76], v[58:59], v[109:110]
	;; [unrolled: 1-line block ×4, first 2 shown]
	v_fma_f64 v[101:102], v[8:9], s[16:17], v[12:13]
	v_fma_f64 v[12:13], v[8:9], s[16:17], -v[12:13]
	v_fma_f64 v[103:104], v[8:9], s[18:19], v[14:15]
	v_fma_f64 v[14:15], v[8:9], s[18:19], -v[14:15]
	v_add_f64 v[131:132], v[147:148], v[16:17]
	v_add_f64 v[133:134], v[147:148], v[18:19]
	;; [unrolled: 1-line block ×6, first 2 shown]
	v_add_f64 v[71:72], v[99:100], -v[91:92]
	v_fma_f64 v[99:100], v[8:9], s[14:15], v[10:11]
	v_fma_f64 v[10:11], v[8:9], s[14:15], -v[10:11]
	v_add_f64 v[73:74], v[95:96], -v[87:88]
	v_add_f64 v[101:102], v[147:148], v[101:102]
	v_add_f64 v[103:104], v[147:148], v[103:104]
	v_add_f64 v[129:130], v[147:148], v[14:15]
	v_mul_f64 v[14:15], v[67:68], s[22:23]
	v_add_f64 v[0:1], v[0:1], v[83:84]
	v_add_f64 v[2:3], v[2:3], v[81:82]
	;; [unrolled: 1-line block ×4, first 2 shown]
	v_mul_f64 v[95:96], v[6:7], s[30:31]
	v_mul_f64 v[97:98], v[6:7], s[38:39]
	v_add_f64 v[10:11], v[147:148], v[10:11]
	v_mul_f64 v[173:174], v[73:74], s[24:25]
	v_mul_f64 v[175:176], v[73:74], s[26:27]
	;; [unrolled: 1-line block ×4, first 2 shown]
	v_fma_f64 v[16:17], v[79:80], s[16:17], v[14:15]
	v_mul_f64 v[207:208], v[71:72], s[56:57]
	v_mul_f64 v[209:210], v[71:72], s[26:27]
	v_add_f64 v[0:1], v[0:1], v[91:92]
	v_add_f64 v[2:3], v[2:3], v[89:90]
	v_mul_f64 v[89:90], v[6:7], s[22:23]
	v_mul_f64 v[91:92], v[6:7], s[26:27]
	v_fma_f64 v[121:122], v[75:76], s[28:29], -v[95:96]
	v_fma_f64 v[95:96], v[75:76], s[28:29], v[95:96]
	v_fma_f64 v[123:124], v[75:76], s[20:21], v[97:98]
	v_fma_f64 v[97:98], v[75:76], s[20:21], -v[97:98]
	v_fma_f64 v[165:166], v[81:82], s[14:15], v[157:158]
	v_fma_f64 v[157:158], v[81:82], s[14:15], -v[157:158]
	v_fma_f64 v[167:168], v[81:82], s[18:19], -v[159:160]
	v_fma_f64 v[159:160], v[81:82], s[18:19], v[159:160]
	v_fma_f64 v[169:170], v[81:82], s[28:29], -v[161:162]
	v_fma_f64 v[161:162], v[81:82], s[28:29], v[161:162]
	v_fma_f64 v[213:214], v[83:84], s[34:35], -v[205:206]
	v_fma_f64 v[205:206], v[83:84], s[34:35], v[205:206]
	v_fma_f64 v[215:216], v[83:84], s[14:15], v[207:208]
	v_fma_f64 v[207:208], v[83:84], s[14:15], -v[207:208]
	v_fma_f64 v[217:218], v[83:84], s[18:19], v[209:210]
	v_fma_f64 v[209:210], v[83:84], s[18:19], -v[209:210]
	v_add_f64 v[0:1], v[0:1], v[87:88]
	v_add_f64 v[20:21], v[2:3], v[85:86]
	v_add_f64 v[85:86], v[93:94], v[85:86]
	v_mul_f64 v[87:88], v[6:7], s[24:25]
	v_mul_f64 v[93:94], v[6:7], s[40:41]
	v_fma_f64 v[115:116], v[75:76], s[16:17], -v[89:90]
	v_fma_f64 v[89:90], v[75:76], s[16:17], v[89:90]
	v_fma_f64 v[117:118], v[75:76], s[18:19], -v[91:92]
	v_fma_f64 v[91:92], v[75:76], s[18:19], v[91:92]
	v_add_f64 v[121:122], v[145:146], v[121:122]
	v_add_f64 v[95:96], v[145:146], v[95:96]
	;; [unrolled: 1-line block ×6, first 2 shown]
	v_fma_f64 v[20:21], v[8:9], s[20:21], -v[22:23]
	v_fma_f64 v[109:110], v[8:9], s[2:3], -v[62:63]
	v_fma_f64 v[111:112], v[8:9], s[0:1], -v[4:5]
	v_fma_f64 v[22:23], v[8:9], s[20:21], v[22:23]
	v_fma_f64 v[62:63], v[8:9], s[2:3], v[62:63]
	;; [unrolled: 1-line block ×3, first 2 shown]
	v_mul_f64 v[8:9], v[6:7], s[36:37]
	v_mul_f64 v[6:7], v[6:7], s[8:9]
	v_fma_f64 v[113:114], v[75:76], s[14:15], -v[87:88]
	v_fma_f64 v[87:88], v[75:76], s[14:15], v[87:88]
	v_fma_f64 v[119:120], v[75:76], s[34:35], -v[93:94]
	v_fma_f64 v[93:94], v[75:76], s[34:35], v[93:94]
	v_add_f64 v[89:90], v[145:146], v[89:90]
	v_add_f64 v[117:118], v[145:146], v[117:118]
	;; [unrolled: 1-line block ×3, first 2 shown]
	v_fma_f64 v[181:182], v[85:86], s[14:15], -v[173:174]
	v_fma_f64 v[173:174], v[85:86], s[14:15], v[173:174]
	v_fma_f64 v[183:184], v[85:86], s[18:19], v[175:176]
	v_fma_f64 v[175:176], v[85:86], s[18:19], -v[175:176]
	v_fma_f64 v[185:186], v[85:86], s[28:29], v[177:178]
	v_fma_f64 v[177:178], v[85:86], s[28:29], -v[177:178]
	v_add_f64 v[135:136], v[147:148], v[20:21]
	v_add_f64 v[109:110], v[147:148], v[109:110]
	;; [unrolled: 1-line block ×6, first 2 shown]
	v_fma_f64 v[125:126], v[75:76], s[2:3], v[8:9]
	v_fma_f64 v[8:9], v[75:76], s[2:3], -v[8:9]
	v_fma_f64 v[127:128], v[75:76], s[0:1], v[6:7]
	v_fma_f64 v[6:7], v[75:76], s[0:1], -v[6:7]
	v_add_f64 v[75:76], v[147:148], v[99:100]
	v_add_f64 v[99:100], v[145:146], v[113:114]
	;; [unrolled: 1-line block ×4, first 2 shown]
	v_mul_f64 v[12:13], v[73:74], s[44:45]
	v_add_f64 v[87:88], v[145:146], v[87:88]
	v_add_f64 v[119:120], v[145:146], v[119:120]
	;; [unrolled: 1-line block ×9, first 2 shown]
	v_mul_f64 v[8:9], v[69:70], s[44:45]
	v_add_f64 v[127:128], v[145:146], v[127:128]
	v_add_f64 v[145:146], v[145:146], v[6:7]
	v_fma_f64 v[6:7], v[85:86], s[0:1], -v[12:13]
	v_add_f64 v[95:96], v[205:206], v[95:96]
	v_add_f64 v[97:98], v[207:208], v[97:98]
	;; [unrolled: 1-line block ×4, first 2 shown]
	v_fma_f64 v[4:5], v[81:82], s[0:1], v[8:9]
	v_fma_f64 v[8:9], v[81:82], s[0:1], -v[8:9]
	v_add_f64 v[6:7], v[6:7], v[99:100]
	s_delay_alu instid0(VALU_DEP_3) | instskip(NEXT) | instid1(VALU_DEP_3)
	v_add_f64 v[4:5], v[4:5], v[75:76]
	v_add_f64 v[8:9], v[8:9], v[10:11]
	v_fma_f64 v[10:11], v[85:86], s[0:1], v[12:13]
	v_fma_f64 v[12:13], v[79:80], s[16:17], -v[14:15]
	v_fma_f64 v[14:15], v[24:25], s[28:29], v[155:156]
	v_add_f64 v[4:5], v[16:17], v[4:5]
	v_mul_f64 v[16:17], v[71:72], s[22:23]
	v_add_f64 v[10:11], v[10:11], v[87:88]
	v_add_f64 v[8:9], v[12:13], v[8:9]
	s_delay_alu instid0(VALU_DEP_3) | instskip(SKIP_2) | instid1(VALU_DEP_3)
	v_fma_f64 v[18:19], v[83:84], s[16:17], -v[16:17]
	v_fma_f64 v[12:13], v[83:84], s[16:17], v[16:17]
	v_mul_f64 v[16:17], v[69:70], s[48:49]
	v_add_f64 v[6:7], v[18:19], v[6:7]
	v_mul_f64 v[18:19], v[56:57], s[42:43]
	s_delay_alu instid0(VALU_DEP_4) | instskip(NEXT) | instid1(VALU_DEP_2)
	v_add_f64 v[10:11], v[12:13], v[10:11]
	v_fma_f64 v[20:21], v[77:78], s[2:3], v[18:19]
	v_fma_f64 v[12:13], v[77:78], s[2:3], -v[18:19]
	v_mul_f64 v[18:19], v[73:74], s[48:49]
	s_delay_alu instid0(VALU_DEP_3) | instskip(SKIP_1) | instid1(VALU_DEP_4)
	v_add_f64 v[4:5], v[20:21], v[4:5]
	v_mul_f64 v[20:21], v[60:61], s[42:43]
	v_add_f64 v[8:9], v[12:13], v[8:9]
	s_delay_alu instid0(VALU_DEP_2) | instskip(SKIP_2) | instid1(VALU_DEP_3)
	v_fma_f64 v[22:23], v[58:59], s[2:3], -v[20:21]
	v_fma_f64 v[12:13], v[58:59], s[2:3], v[20:21]
	v_mul_f64 v[20:21], v[67:68], s[30:31]
	v_add_f64 v[6:7], v[22:23], v[6:7]
	v_mul_f64 v[22:23], v[42:43], s[26:27]
	s_delay_alu instid0(VALU_DEP_4) | instskip(NEXT) | instid1(VALU_DEP_2)
	v_add_f64 v[10:11], v[12:13], v[10:11]
	v_fma_f64 v[62:63], v[54:55], s[18:19], v[22:23]
	v_fma_f64 v[12:13], v[54:55], s[18:19], -v[22:23]
	v_fma_f64 v[22:23], v[79:80], s[28:29], v[20:21]
	v_fma_f64 v[20:21], v[79:80], s[28:29], -v[20:21]
	s_delay_alu instid0(VALU_DEP_4) | instskip(SKIP_2) | instid1(VALU_DEP_2)
	v_add_f64 v[4:5], v[62:63], v[4:5]
	v_mul_f64 v[62:63], v[52:53], s[26:27]
	v_add_f64 v[8:9], v[12:13], v[8:9]
	v_fma_f64 v[75:76], v[50:51], s[18:19], -v[62:63]
	v_fma_f64 v[12:13], v[50:51], s[18:19], v[62:63]
	s_delay_alu instid0(VALU_DEP_2) | instskip(SKIP_1) | instid1(VALU_DEP_3)
	v_add_f64 v[6:7], v[75:76], v[6:7]
	v_mul_f64 v[75:76], v[34:35], s[48:49]
	v_add_f64 v[10:11], v[12:13], v[10:11]
	s_delay_alu instid0(VALU_DEP_2) | instskip(SKIP_1) | instid1(VALU_DEP_2)
	v_fma_f64 v[99:100], v[48:49], s[20:21], v[75:76]
	v_fma_f64 v[12:13], v[48:49], s[20:21], -v[75:76]
	v_add_f64 v[4:5], v[99:100], v[4:5]
	v_mul_f64 v[99:100], v[46:47], s[48:49]
	s_delay_alu instid0(VALU_DEP_3) | instskip(NEXT) | instid1(VALU_DEP_2)
	v_add_f64 v[8:9], v[12:13], v[8:9]
	v_fma_f64 v[147:148], v[44:45], s[20:21], -v[99:100]
	v_fma_f64 v[12:13], v[44:45], s[20:21], v[99:100]
	s_delay_alu instid0(VALU_DEP_2) | instskip(SKIP_1) | instid1(VALU_DEP_3)
	v_add_f64 v[6:7], v[147:148], v[6:7]
	v_mul_f64 v[147:148], v[32:33], s[40:41]
	v_add_f64 v[10:11], v[12:13], v[10:11]
	s_delay_alu instid0(VALU_DEP_2) | instskip(SKIP_1) | instid1(VALU_DEP_2)
	v_fma_f64 v[149:150], v[38:39], s[34:35], v[147:148]
	v_fma_f64 v[12:13], v[38:39], s[34:35], -v[147:148]
	v_add_f64 v[4:5], v[149:150], v[4:5]
	v_mul_f64 v[149:150], v[40:41], s[40:41]
	s_delay_alu instid0(VALU_DEP_3) | instskip(NEXT) | instid1(VALU_DEP_2)
	v_add_f64 v[8:9], v[12:13], v[8:9]
	v_fma_f64 v[12:13], v[36:37], s[34:35], v[149:150]
	v_fma_f64 v[151:152], v[36:37], s[34:35], -v[149:150]
	s_delay_alu instid0(VALU_DEP_2) | instskip(SKIP_1) | instid1(VALU_DEP_3)
	v_add_f64 v[12:13], v[12:13], v[10:11]
	v_fma_f64 v[10:11], v[26:27], s[28:29], -v[153:154]
	v_add_f64 v[151:152], v[151:152], v[6:7]
	v_fma_f64 v[6:7], v[26:27], s[28:29], v[153:154]
	v_mul_f64 v[153:154], v[28:29], s[40:41]
	s_delay_alu instid0(VALU_DEP_4)
	v_add_f64 v[10:11], v[10:11], v[8:9]
	v_add_f64 v[8:9], v[14:15], v[12:13]
	v_fma_f64 v[12:13], v[81:82], s[20:21], v[16:17]
	v_fma_f64 v[14:15], v[85:86], s[20:21], -v[18:19]
	v_fma_f64 v[16:17], v[81:82], s[20:21], -v[16:17]
	v_fma_f64 v[18:19], v[85:86], s[20:21], v[18:19]
	v_add_f64 v[6:7], v[6:7], v[4:5]
	v_fma_f64 v[4:5], v[24:25], s[28:29], -v[155:156]
	v_mul_f64 v[155:156], v[30:31], s[40:41]
	v_add_f64 v[12:13], v[12:13], v[101:102]
	v_add_f64 v[14:15], v[14:15], v[113:114]
	;; [unrolled: 1-line block ×4, first 2 shown]
	v_mul_f64 v[89:90], v[67:68], s[8:9]
	v_mul_f64 v[115:116], v[52:53], s[50:51]
	v_add_f64 v[4:5], v[4:5], v[151:152]
	v_add_f64 v[12:13], v[22:23], v[12:13]
	v_mul_f64 v[22:23], v[71:72], s[30:31]
	v_add_f64 v[16:17], v[20:21], v[16:17]
	s_delay_alu instid0(VALU_DEP_2) | instskip(SKIP_2) | instid1(VALU_DEP_3)
	v_fma_f64 v[62:63], v[83:84], s[28:29], -v[22:23]
	v_fma_f64 v[20:21], v[83:84], s[28:29], v[22:23]
	v_fma_f64 v[22:23], v[24:25], s[34:35], v[155:156]
	v_add_f64 v[14:15], v[62:63], v[14:15]
	v_mul_f64 v[62:63], v[56:57], s[46:47]
	s_delay_alu instid0(VALU_DEP_4) | instskip(NEXT) | instid1(VALU_DEP_2)
	v_add_f64 v[18:19], v[20:21], v[18:19]
	v_fma_f64 v[75:76], v[77:78], s[18:19], v[62:63]
	v_fma_f64 v[20:21], v[77:78], s[18:19], -v[62:63]
	v_fma_f64 v[62:63], v[79:80], s[0:1], v[89:90]
	v_fma_f64 v[89:90], v[79:80], s[0:1], -v[89:90]
	s_delay_alu instid0(VALU_DEP_4) | instskip(SKIP_2) | instid1(VALU_DEP_2)
	v_add_f64 v[12:13], v[75:76], v[12:13]
	v_mul_f64 v[75:76], v[60:61], s[46:47]
	v_add_f64 v[16:17], v[20:21], v[16:17]
	v_fma_f64 v[87:88], v[58:59], s[18:19], -v[75:76]
	v_fma_f64 v[20:21], v[58:59], s[18:19], v[75:76]
	v_mul_f64 v[75:76], v[69:70], s[52:53]
	s_delay_alu instid0(VALU_DEP_3) | instskip(SKIP_1) | instid1(VALU_DEP_4)
	v_add_f64 v[14:15], v[87:88], v[14:15]
	v_mul_f64 v[87:88], v[42:43], s[8:9]
	v_add_f64 v[18:19], v[20:21], v[18:19]
	s_delay_alu instid0(VALU_DEP_2) | instskip(SKIP_2) | instid1(VALU_DEP_3)
	v_fma_f64 v[99:100], v[54:55], s[0:1], v[87:88]
	v_fma_f64 v[20:21], v[54:55], s[0:1], -v[87:88]
	v_mul_f64 v[87:88], v[73:74], s[52:53]
	v_add_f64 v[12:13], v[99:100], v[12:13]
	v_mul_f64 v[99:100], v[52:53], s[8:9]
	s_delay_alu instid0(VALU_DEP_4) | instskip(NEXT) | instid1(VALU_DEP_2)
	v_add_f64 v[16:17], v[20:21], v[16:17]
	v_fma_f64 v[101:102], v[50:51], s[0:1], -v[99:100]
	v_fma_f64 v[20:21], v[50:51], s[0:1], v[99:100]
	v_mul_f64 v[99:100], v[71:72], s[8:9]
	s_delay_alu instid0(VALU_DEP_3) | instskip(SKIP_1) | instid1(VALU_DEP_4)
	v_add_f64 v[14:15], v[101:102], v[14:15]
	v_mul_f64 v[101:102], v[34:35], s[24:25]
	v_add_f64 v[18:19], v[20:21], v[18:19]
	s_delay_alu instid0(VALU_DEP_2) | instskip(SKIP_2) | instid1(VALU_DEP_3)
	v_fma_f64 v[113:114], v[48:49], s[14:15], v[101:102]
	v_fma_f64 v[20:21], v[48:49], s[14:15], -v[101:102]
	v_mul_f64 v[101:102], v[56:57], s[22:23]
	v_add_f64 v[12:13], v[113:114], v[12:13]
	v_mul_f64 v[113:114], v[46:47], s[24:25]
	s_delay_alu instid0(VALU_DEP_4) | instskip(NEXT) | instid1(VALU_DEP_2)
	;; [unrolled: 15-line block ×3, first 2 shown]
	v_add_f64 v[16:17], v[20:21], v[16:17]
	v_fma_f64 v[20:21], v[36:37], s[2:3], v[149:150]
	v_fma_f64 v[151:152], v[36:37], s[2:3], -v[149:150]
	v_mul_f64 v[149:150], v[32:33], s[24:25]
	s_delay_alu instid0(VALU_DEP_3) | instskip(SKIP_1) | instid1(VALU_DEP_4)
	v_add_f64 v[20:21], v[20:21], v[18:19]
	v_fma_f64 v[18:19], v[26:27], s[34:35], -v[153:154]
	v_add_f64 v[151:152], v[151:152], v[14:15]
	v_fma_f64 v[14:15], v[26:27], s[34:35], v[153:154]
	s_delay_alu instid0(VALU_DEP_3)
	v_add_f64 v[18:19], v[18:19], v[16:17]
	v_add_f64 v[16:17], v[22:23], v[20:21]
	v_fma_f64 v[20:21], v[81:82], s[34:35], v[75:76]
	v_fma_f64 v[22:23], v[85:86], s[34:35], -v[87:88]
	v_add_f64 v[14:15], v[14:15], v[12:13]
	v_fma_f64 v[12:13], v[24:25], s[34:35], -v[155:156]
	v_mul_f64 v[155:156], v[30:31], s[48:49]
	v_fma_f64 v[75:76], v[81:82], s[34:35], -v[75:76]
	v_fma_f64 v[87:88], v[85:86], s[34:35], v[87:88]
	v_add_f64 v[20:21], v[20:21], v[103:104]
	v_add_f64 v[22:23], v[22:23], v[117:118]
	v_mul_f64 v[103:104], v[60:61], s[22:23]
	v_mul_f64 v[117:118], v[34:35], s[36:37]
	v_add_f64 v[12:13], v[12:13], v[151:152]
	v_mul_f64 v[151:152], v[40:41], s[24:25]
	v_add_f64 v[75:76], v[75:76], v[129:130]
	v_add_f64 v[87:88], v[87:88], v[91:92]
	;; [unrolled: 1-line block ×3, first 2 shown]
	v_mul_f64 v[137:138], v[56:57], s[44:45]
	v_add_f64 v[20:21], v[62:63], v[20:21]
	v_fma_f64 v[62:63], v[83:84], s[0:1], -v[99:100]
	v_fma_f64 v[99:100], v[83:84], s[0:1], v[99:100]
	v_add_f64 v[75:76], v[89:90], v[75:76]
	s_delay_alu instid0(VALU_DEP_3) | instskip(SKIP_3) | instid1(VALU_DEP_3)
	v_add_f64 v[22:23], v[62:63], v[22:23]
	v_fma_f64 v[62:63], v[77:78], s[16:17], v[101:102]
	v_fma_f64 v[101:102], v[77:78], s[16:17], -v[101:102]
	v_add_f64 v[87:88], v[99:100], v[87:88]
	v_add_f64 v[20:21], v[62:63], v[20:21]
	v_fma_f64 v[62:63], v[58:59], s[16:17], -v[103:104]
	v_fma_f64 v[103:104], v[58:59], s[16:17], v[103:104]
	v_add_f64 v[75:76], v[101:102], v[75:76]
	s_delay_alu instid0(VALU_DEP_3) | instskip(SKIP_2) | instid1(VALU_DEP_2)
	v_add_f64 v[22:23], v[62:63], v[22:23]
	v_fma_f64 v[62:63], v[54:55], s[28:29], v[113:114]
	v_fma_f64 v[113:114], v[54:55], s[28:29], -v[113:114]
	v_add_f64 v[20:21], v[62:63], v[20:21]
	v_fma_f64 v[62:63], v[50:51], s[28:29], -v[115:116]
	s_delay_alu instid0(VALU_DEP_3) | instskip(SKIP_1) | instid1(VALU_DEP_3)
	v_add_f64 v[75:76], v[113:114], v[75:76]
	v_fma_f64 v[113:114], v[50:51], s[28:29], v[115:116]
	v_add_f64 v[22:23], v[62:63], v[22:23]
	v_fma_f64 v[62:63], v[48:49], s[2:3], v[117:118]
	v_fma_f64 v[117:118], v[48:49], s[2:3], -v[117:118]
	s_delay_alu instid0(VALU_DEP_2) | instskip(SKIP_1) | instid1(VALU_DEP_3)
	v_add_f64 v[20:21], v[62:63], v[20:21]
	v_fma_f64 v[62:63], v[44:45], s[2:3], -v[147:148]
	v_add_f64 v[75:76], v[117:118], v[75:76]
	v_fma_f64 v[117:118], v[44:45], s[2:3], v[147:148]
	s_delay_alu instid0(VALU_DEP_3) | instskip(SKIP_1) | instid1(VALU_DEP_1)
	v_add_f64 v[22:23], v[62:63], v[22:23]
	v_fma_f64 v[62:63], v[38:39], s[14:15], v[149:150]
	v_add_f64 v[20:21], v[62:63], v[20:21]
	v_fma_f64 v[62:63], v[36:37], s[14:15], -v[151:152]
	s_delay_alu instid0(VALU_DEP_1) | instskip(SKIP_1) | instid1(VALU_DEP_1)
	v_add_f64 v[153:154], v[62:63], v[22:23]
	v_mul_f64 v[62:63], v[28:29], s[48:49]
	v_fma_f64 v[22:23], v[26:27], s[20:21], v[62:63]
	s_delay_alu instid0(VALU_DEP_1) | instskip(SKIP_1) | instid1(VALU_DEP_1)
	v_add_f64 v[22:23], v[22:23], v[20:21]
	v_fma_f64 v[20:21], v[24:25], s[20:21], -v[155:156]
	v_add_f64 v[20:21], v[20:21], v[153:154]
	v_mul_f64 v[153:154], v[69:70], s[54:55]
	v_mul_f64 v[69:70], v[69:70], s[36:37]
	s_delay_alu instid0(VALU_DEP_2) | instskip(SKIP_1) | instid1(VALU_DEP_3)
	v_fma_f64 v[163:164], v[81:82], s[16:17], v[153:154]
	v_fma_f64 v[153:154], v[81:82], s[16:17], -v[153:154]
	v_fma_f64 v[171:172], v[81:82], s[2:3], -v[69:70]
	v_fma_f64 v[69:70], v[81:82], s[2:3], v[69:70]
	v_mul_f64 v[81:82], v[73:74], s[54:55]
	v_mul_f64 v[73:74], v[73:74], s[36:37]
	v_add_f64 v[91:92], v[163:164], v[105:106]
	s_delay_alu instid0(VALU_DEP_4) | instskip(NEXT) | instid1(VALU_DEP_4)
	v_add_f64 v[69:70], v[69:70], v[143:144]
	v_fma_f64 v[179:180], v[85:86], s[16:17], -v[81:82]
	v_fma_f64 v[81:82], v[85:86], s[16:17], v[81:82]
	v_fma_f64 v[187:188], v[85:86], s[2:3], v[73:74]
	v_fma_f64 v[73:74], v[85:86], s[2:3], -v[73:74]
	v_mul_f64 v[85:86], v[67:68], s[42:43]
	v_mul_f64 v[67:68], v[67:68], s[38:39]
	v_add_f64 v[105:106], v[179:180], v[119:120]
	v_add_f64 v[119:120], v[153:154], v[131:132]
	v_add_f64 v[81:82], v[81:82], v[93:94]
	v_add_f64 v[93:94], v[165:166], v[107:108]
	v_fma_f64 v[195:196], v[79:80], s[2:3], v[85:86]
	v_fma_f64 v[85:86], v[79:80], s[2:3], -v[85:86]
	v_fma_f64 v[203:204], v[79:80], s[20:21], -v[67:68]
	v_fma_f64 v[67:68], v[79:80], s[20:21], v[67:68]
	v_mul_f64 v[79:80], v[71:72], s[42:43]
	v_mul_f64 v[71:72], v[71:72], s[38:39]
	v_add_f64 v[107:108], v[181:182], v[121:122]
	v_add_f64 v[121:122], v[157:158], v[133:134]
	;; [unrolled: 1-line block ×4, first 2 shown]
	v_mul_f64 v[139:140], v[56:57], s[52:53]
	v_mul_f64 v[141:142], v[56:57], s[24:25]
	v_fma_f64 v[157:158], v[77:78], s[0:1], v[137:138]
	v_fma_f64 v[137:138], v[77:78], s[0:1], -v[137:138]
	v_add_f64 v[73:74], v[73:74], v[145:146]
	v_add_f64 v[89:90], v[195:196], v[91:92]
	;; [unrolled: 1-line block ×4, first 2 shown]
	v_mul_f64 v[129:130], v[60:61], s[52:53]
	v_fma_f64 v[211:212], v[83:84], s[2:3], -v[79:80]
	v_fma_f64 v[79:80], v[83:84], s[2:3], v[79:80]
	v_fma_f64 v[219:220], v[83:84], s[20:21], v[71:72]
	v_fma_f64 v[71:72], v[83:84], s[20:21], -v[71:72]
	v_add_f64 v[83:84], v[171:172], v[111:112]
	v_add_f64 v[111:112], v[187:188], v[127:128]
	;; [unrolled: 1-line block ×3, first 2 shown]
	v_mul_f64 v[135:136], v[56:57], s[38:39]
	v_mul_f64 v[56:57], v[56:57], s[30:31]
	v_fma_f64 v[159:160], v[77:78], s[34:35], -v[139:140]
	v_fma_f64 v[139:140], v[77:78], s[34:35], v[139:140]
	v_fma_f64 v[161:162], v[77:78], s[14:15], -v[141:142]
	v_fma_f64 v[141:142], v[77:78], s[14:15], v[141:142]
	v_add_f64 v[99:100], v[189:190], v[121:122]
	v_add_f64 v[121:122], v[193:194], v[131:132]
	v_mul_f64 v[131:132], v[60:61], s[24:25]
	v_fma_f64 v[145:146], v[58:59], s[34:35], v[129:130]
	v_add_f64 v[91:92], v[211:212], v[105:106]
	v_add_f64 v[79:80], v[79:80], v[81:82]
	;; [unrolled: 1-line block ×7, first 2 shown]
	v_fma_f64 v[153:154], v[77:78], s[20:21], v[135:136]
	v_fma_f64 v[135:136], v[77:78], s[20:21], -v[135:136]
	v_fma_f64 v[163:164], v[77:78], s[28:29], -v[56:57]
	v_fma_f64 v[56:57], v[77:78], s[28:29], v[56:57]
	v_add_f64 v[77:78], v[203:204], v[83:84]
	v_add_f64 v[83:84], v[219:220], v[111:112]
	;; [unrolled: 1-line block ×3, first 2 shown]
	v_mul_f64 v[125:126], v[60:61], s[38:39]
	v_mul_f64 v[127:128], v[60:61], s[44:45]
	;; [unrolled: 1-line block ×3, first 2 shown]
	v_fma_f64 v[129:130], v[58:59], s[34:35], -v[129:130]
	v_fma_f64 v[165:166], v[58:59], s[14:15], v[131:132]
	v_fma_f64 v[131:132], v[58:59], s[14:15], -v[131:132]
	v_add_f64 v[81:82], v[157:158], v[81:82]
	v_add_f64 v[101:102], v[145:146], v[107:108]
	;; [unrolled: 1-line block ×3, first 2 shown]
	v_fma_f64 v[133:134], v[58:59], s[20:21], -v[125:126]
	v_fma_f64 v[125:126], v[58:59], s[20:21], v[125:126]
	v_fma_f64 v[143:144], v[58:59], s[0:1], -v[127:128]
	v_fma_f64 v[127:128], v[58:59], s[0:1], v[127:128]
	v_fma_f64 v[167:168], v[58:59], s[28:29], v[60:61]
	v_fma_f64 v[58:59], v[58:59], s[28:29], -v[60:61]
	v_add_f64 v[60:61], v[67:68], v[69:70]
	v_add_f64 v[67:68], v[71:72], v[73:74]
	v_add_f64 v[73:74], v[161:162], v[109:110]
	v_mul_f64 v[109:110], v[42:43], s[40:41]
	v_add_f64 v[69:70], v[163:164], v[77:78]
	v_add_f64 v[77:78], v[165:166], v[111:112]
	;; [unrolled: 1-line block ×11, first 2 shown]
	v_fma_f64 v[111:112], v[54:55], s[34:35], -v[109:110]
	v_add_f64 v[91:92], v[143:144], v[93:94]
	v_add_f64 v[93:94], v[137:138], v[99:100]
	;; [unrolled: 1-line block ×5, first 2 shown]
	v_mul_f64 v[60:61], v[52:53], s[38:39]
	v_add_f64 v[58:59], v[58:59], v[67:68]
	v_add_f64 v[83:84], v[113:114], v[83:84]
	v_mul_f64 v[113:114], v[42:43], s[24:25]
	v_add_f64 v[69:70], v[111:112], v[69:70]
	v_mul_f64 v[111:112], v[52:53], s[40:41]
	s_delay_alu instid0(VALU_DEP_4) | instskip(NEXT) | instid1(VALU_DEP_4)
	v_add_f64 v[83:84], v[117:118], v[83:84]
	v_fma_f64 v[115:116], v[54:55], s[14:15], v[113:114]
	v_fma_f64 v[113:114], v[54:55], s[14:15], -v[113:114]
	v_mul_f64 v[117:118], v[34:35], s[50:51]
	v_fma_f64 v[119:120], v[50:51], s[34:35], v[111:112]
	s_delay_alu instid0(VALU_DEP_4) | instskip(SKIP_2) | instid1(VALU_DEP_4)
	v_add_f64 v[87:88], v[115:116], v[87:88]
	v_mul_f64 v[115:116], v[52:53], s[24:25]
	v_add_f64 v[85:86], v[113:114], v[85:86]
	v_add_f64 v[71:72], v[119:120], v[71:72]
	v_mul_f64 v[119:120], v[42:43], s[54:55]
	s_delay_alu instid0(VALU_DEP_4) | instskip(NEXT) | instid1(VALU_DEP_2)
	v_fma_f64 v[113:114], v[50:51], s[14:15], v[115:116]
	v_fma_f64 v[121:122], v[54:55], s[16:17], -v[119:120]
	v_fma_f64 v[119:120], v[54:55], s[16:17], v[119:120]
	s_delay_alu instid0(VALU_DEP_3)
	v_add_f64 v[79:80], v[113:114], v[79:80]
	v_mul_f64 v[113:114], v[42:43], s[38:39]
	v_mul_f64 v[42:43], v[42:43], s[42:43]
	v_add_f64 v[73:74], v[121:122], v[73:74]
	v_mul_f64 v[121:122], v[52:53], s[54:55]
	v_mul_f64 v[52:53], v[52:53], s[42:43]
	s_delay_alu instid0(VALU_DEP_2) | instskip(NEXT) | instid1(VALU_DEP_2)
	v_fma_f64 v[123:124], v[50:51], s[16:17], v[121:122]
	v_fma_f64 v[143:144], v[50:51], s[2:3], v[52:53]
	v_fma_f64 v[52:53], v[50:51], s[2:3], -v[52:53]
	v_fma_f64 v[121:122], v[50:51], s[16:17], -v[121:122]
	s_delay_alu instid0(VALU_DEP_4)
	v_add_f64 v[77:78], v[123:124], v[77:78]
	v_fma_f64 v[123:124], v[50:51], s[14:15], -v[115:116]
	v_fma_f64 v[115:116], v[54:55], s[20:21], v[113:114]
	v_fma_f64 v[113:114], v[54:55], s[20:21], -v[113:114]
	v_add_f64 v[52:53], v[52:53], v[97:98]
	v_add_f64 v[97:98], v[121:122], v[107:108]
	v_add_f64 v[89:90], v[123:124], v[89:90]
	v_add_f64 v[81:82], v[115:116], v[81:82]
	v_mul_f64 v[115:116], v[34:35], s[26:27]
	s_delay_alu instid0(VALU_DEP_1) | instskip(NEXT) | instid1(VALU_DEP_1)
	v_fma_f64 v[123:124], v[48:49], s[18:19], -v[115:116]
	v_add_f64 v[69:70], v[123:124], v[69:70]
	v_mul_f64 v[123:124], v[46:47], s[26:27]
	s_delay_alu instid0(VALU_DEP_1) | instskip(NEXT) | instid1(VALU_DEP_1)
	v_fma_f64 v[125:126], v[44:45], s[18:19], v[123:124]
	v_add_f64 v[71:72], v[125:126], v[71:72]
	v_mul_f64 v[125:126], v[34:35], s[52:53]
	s_delay_alu instid0(VALU_DEP_1) | instskip(NEXT) | instid1(VALU_DEP_1)
	v_fma_f64 v[127:128], v[48:49], s[34:35], -v[125:126]
	v_add_f64 v[73:74], v[127:128], v[73:74]
	v_mul_f64 v[127:128], v[46:47], s[52:53]
	s_delay_alu instid0(VALU_DEP_1) | instskip(NEXT) | instid1(VALU_DEP_1)
	v_fma_f64 v[129:130], v[44:45], s[34:35], v[127:128]
	v_add_f64 v[77:78], v[129:130], v[77:78]
	v_fma_f64 v[129:130], v[48:49], s[28:29], v[117:118]
	v_fma_f64 v[117:118], v[48:49], s[28:29], -v[117:118]
	s_delay_alu instid0(VALU_DEP_2) | instskip(SKIP_1) | instid1(VALU_DEP_3)
	v_add_f64 v[87:88], v[129:130], v[87:88]
	v_mul_f64 v[129:130], v[46:47], s[50:51]
	v_add_f64 v[85:86], v[117:118], v[85:86]
	s_delay_alu instid0(VALU_DEP_2) | instskip(SKIP_1) | instid1(VALU_DEP_2)
	v_fma_f64 v[117:118], v[44:45], s[28:29], v[129:130]
	v_fma_f64 v[131:132], v[44:45], s[28:29], -v[129:130]
	v_add_f64 v[79:80], v[117:118], v[79:80]
	v_mul_f64 v[117:118], v[34:35], s[22:23]
	s_delay_alu instid0(VALU_DEP_3) | instskip(SKIP_1) | instid1(VALU_DEP_3)
	v_add_f64 v[89:90], v[131:132], v[89:90]
	v_mul_f64 v[34:35], v[34:35], s[8:9]
	v_fma_f64 v[129:130], v[48:49], s[16:17], v[117:118]
	s_delay_alu instid0(VALU_DEP_1) | instskip(SKIP_1) | instid1(VALU_DEP_1)
	v_add_f64 v[81:82], v[129:130], v[81:82]
	v_mul_f64 v[129:130], v[32:33], s[22:23]
	v_fma_f64 v[131:132], v[38:39], s[16:17], -v[129:130]
	s_delay_alu instid0(VALU_DEP_1) | instskip(SKIP_1) | instid1(VALU_DEP_1)
	v_add_f64 v[69:70], v[131:132], v[69:70]
	v_mul_f64 v[131:132], v[40:41], s[22:23]
	v_fma_f64 v[133:134], v[36:37], s[16:17], v[131:132]
	s_delay_alu instid0(VALU_DEP_1) | instskip(SKIP_1) | instid1(VALU_DEP_1)
	v_add_f64 v[71:72], v[133:134], v[71:72]
	v_mul_f64 v[133:134], v[32:33], s[48:49]
	v_fma_f64 v[135:136], v[38:39], s[20:21], -v[133:134]
	s_delay_alu instid0(VALU_DEP_1) | instskip(SKIP_1) | instid1(VALU_DEP_1)
	v_add_f64 v[73:74], v[135:136], v[73:74]
	v_mul_f64 v[135:136], v[40:41], s[48:49]
	v_fma_f64 v[137:138], v[36:37], s[20:21], v[135:136]
	s_delay_alu instid0(VALU_DEP_1) | instskip(SKIP_1) | instid1(VALU_DEP_1)
	v_add_f64 v[77:78], v[137:138], v[77:78]
	v_fma_f64 v[137:138], v[38:39], s[14:15], -v[149:150]
	v_add_f64 v[75:76], v[137:138], v[75:76]
	v_fma_f64 v[137:138], v[36:37], s[14:15], v[151:152]
	s_delay_alu instid0(VALU_DEP_1) | instskip(SKIP_1) | instid1(VALU_DEP_1)
	v_add_f64 v[83:84], v[137:138], v[83:84]
	v_mul_f64 v[137:138], v[32:33], s[8:9]
	v_fma_f64 v[139:140], v[38:39], s[0:1], v[137:138]
	s_delay_alu instid0(VALU_DEP_1) | instskip(SKIP_1) | instid1(VALU_DEP_1)
	v_add_f64 v[87:88], v[139:140], v[87:88]
	v_mul_f64 v[139:140], v[40:41], s[8:9]
	v_fma_f64 v[141:142], v[36:37], s[0:1], -v[139:140]
	s_delay_alu instid0(VALU_DEP_1)
	v_add_f64 v[89:90], v[141:142], v[89:90]
	v_fma_f64 v[141:142], v[54:55], s[2:3], -v[42:43]
	v_fma_f64 v[42:43], v[54:55], s[2:3], v[42:43]
	v_fma_f64 v[54:55], v[54:55], s[34:35], v[109:110]
	v_fma_f64 v[109:110], v[50:51], s[20:21], -v[60:61]
	v_fma_f64 v[60:61], v[50:51], s[20:21], v[60:61]
	v_fma_f64 v[50:51], v[50:51], s[34:35], -v[111:112]
	v_fma_f64 v[111:112], v[44:45], s[34:35], -v[127:128]
	v_add_f64 v[42:43], v[42:43], v[103:104]
	v_add_f64 v[54:55], v[54:55], v[56:57]
	v_mul_f64 v[56:57], v[46:47], s[22:23]
	v_add_f64 v[60:61], v[60:61], v[95:96]
	v_fma_f64 v[103:104], v[48:49], s[0:1], -v[34:35]
	v_fma_f64 v[34:35], v[48:49], s[0:1], v[34:35]
	v_mul_f64 v[46:47], v[46:47], s[8:9]
	v_add_f64 v[67:68], v[109:110], v[91:92]
	v_add_f64 v[91:92], v[113:114], v[93:94]
	;; [unrolled: 1-line block ×4, first 2 shown]
	v_fma_f64 v[101:102], v[48:49], s[16:17], -v[117:118]
	v_add_f64 v[95:96], v[119:120], v[105:106]
	v_fma_f64 v[105:106], v[48:49], s[34:35], v[125:126]
	v_fma_f64 v[48:49], v[48:49], s[18:19], v[115:116]
	v_add_f64 v[50:51], v[50:51], v[58:59]
	v_mul_f64 v[113:114], v[28:29], s[44:45]
	v_add_f64 v[97:98], v[111:112], v[97:98]
	v_fma_f64 v[111:112], v[36:37], s[20:21], -v[135:136]
	v_fma_f64 v[107:108], v[44:45], s[16:17], -v[56:57]
	v_fma_f64 v[56:57], v[44:45], s[16:17], v[56:57]
	v_add_f64 v[34:35], v[34:35], v[42:43]
	v_fma_f64 v[109:110], v[44:45], s[0:1], v[46:47]
	v_fma_f64 v[46:47], v[44:45], s[0:1], -v[46:47]
	v_mul_f64 v[42:43], v[40:41], s[46:47]
	v_fma_f64 v[44:45], v[44:45], s[18:19], -v[123:124]
	v_mul_f64 v[40:41], v[40:41], s[30:31]
	v_add_f64 v[95:96], v[105:106], v[95:96]
	v_add_f64 v[48:49], v[48:49], v[54:55]
	;; [unrolled: 1-line block ×3, first 2 shown]
	v_fma_f64 v[111:112], v[26:27], s[0:1], v[113:114]
	v_add_f64 v[58:59], v[107:108], v[67:68]
	v_add_f64 v[56:57], v[56:57], v[60:61]
	v_mul_f64 v[60:61], v[32:33], s[46:47]
	v_add_f64 v[67:68], v[101:102], v[91:92]
	v_add_f64 v[91:92], v[103:104], v[93:94]
	;; [unrolled: 1-line block ×3, first 2 shown]
	v_fma_f64 v[99:100], v[38:39], s[0:1], -v[137:138]
	v_fma_f64 v[101:102], v[36:37], s[0:1], v[139:140]
	v_add_f64 v[46:47], v[46:47], v[52:53]
	v_fma_f64 v[103:104], v[36:37], s[18:19], -v[42:43]
	v_mul_f64 v[32:33], v[32:33], s[30:31]
	v_fma_f64 v[107:108], v[38:39], s[20:21], v[133:134]
	v_mul_f64 v[109:110], v[28:29], s[24:25]
	v_fma_f64 v[54:55], v[36:37], s[28:29], v[40:41]
	v_fma_f64 v[40:41], v[36:37], s[28:29], -v[40:41]
	v_add_f64 v[44:45], v[44:45], v[50:51]
	v_mul_f64 v[50:51], v[30:31], s[44:45]
	v_fma_f64 v[42:43], v[36:37], s[18:19], v[42:43]
	v_fma_f64 v[36:37], v[36:37], s[16:17], -v[131:132]
	v_fma_f64 v[52:53], v[38:39], s[18:19], v[60:61]
	v_fma_f64 v[60:61], v[38:39], s[18:19], -v[60:61]
	v_add_f64 v[85:86], v[99:100], v[85:86]
	v_mul_f64 v[99:100], v[28:29], s[26:27]
	v_add_f64 v[79:80], v[101:102], v[79:80]
	v_mul_f64 v[101:102], v[28:29], s[42:43]
	v_mul_f64 v[28:29], v[28:29], s[22:23]
	v_add_f64 v[58:59], v[103:104], v[58:59]
	v_mul_f64 v[103:104], v[30:31], s[42:43]
	v_fma_f64 v[105:106], v[38:39], s[28:29], -v[32:33]
	v_fma_f64 v[32:33], v[38:39], s[28:29], v[32:33]
	v_fma_f64 v[38:39], v[38:39], s[16:17], v[129:130]
	v_add_f64 v[117:118], v[40:41], v[46:47]
	v_add_f64 v[95:96], v[107:108], v[95:96]
	;; [unrolled: 1-line block ×3, first 2 shown]
	v_fma_f64 v[93:94], v[26:27], s[0:1], -v[113:114]
	v_add_f64 v[56:57], v[42:43], v[56:57]
	v_fma_f64 v[42:43], v[24:25], s[0:1], v[50:51]
	v_fma_f64 v[125:126], v[24:25], s[0:1], -v[50:51]
	v_add_f64 v[129:130], v[36:37], v[44:45]
	v_add_f64 v[52:53], v[52:53], v[81:82]
	v_mul_f64 v[81:82], v[30:31], s[26:27]
	v_add_f64 v[60:61], v[60:61], v[67:68]
	v_mul_f64 v[67:68], v[30:31], s[22:23]
	v_mul_f64 v[30:31], v[30:31], s[24:25]
	v_fma_f64 v[119:120], v[26:27], s[18:19], v[99:100]
	v_fma_f64 v[40:41], v[26:27], s[18:19], -v[99:100]
	v_fma_f64 v[99:100], v[26:27], s[2:3], v[101:102]
	v_fma_f64 v[46:47], v[26:27], s[2:3], -v[101:102]
	v_fma_f64 v[101:102], v[26:27], s[16:17], -v[28:29]
	v_fma_f64 v[107:108], v[26:27], s[16:17], v[28:29]
	v_fma_f64 v[123:124], v[24:25], s[2:3], -v[103:104]
	v_add_f64 v[115:116], v[32:33], v[34:35]
	v_fma_f64 v[32:33], v[26:27], s[20:21], -v[62:63]
	v_fma_f64 v[62:63], v[24:25], s[20:21], v[155:156]
	v_add_f64 v[121:122], v[38:39], v[48:49]
	v_fma_f64 v[48:49], v[24:25], s[2:3], v[103:104]
	v_add_f64 v[91:92], v[105:106], v[91:92]
	v_fma_f64 v[105:106], v[26:27], s[14:15], -v[109:110]
	v_fma_f64 v[109:110], v[26:27], s[14:15], v[109:110]
	v_fma_f64 v[113:114], v[24:25], s[18:19], -v[81:82]
	v_fma_f64 v[81:82], v[24:25], s[18:19], v[81:82]
	v_fma_f64 v[103:104], v[24:25], s[16:17], v[67:68]
	;; [unrolled: 1-line block ×3, first 2 shown]
	v_fma_f64 v[67:68], v[24:25], s[16:17], -v[67:68]
	v_fma_f64 v[127:128], v[24:25], s[14:15], -v[30:31]
	v_add_f64 v[30:31], v[93:94], v[73:74]
	v_add_f64 v[38:39], v[40:41], v[85:86]
	;; [unrolled: 1-line block ×13, first 2 shown]
	s_clause 0x1
	scratch_load_b32 v71, off, off offset:12
	scratch_load_b32 v72, off, off offset:1412
	v_add_f64 v[28:29], v[42:43], v[77:78]
	v_add_f64 v[42:43], v[46:47], v[60:61]
	;; [unrolled: 1-line block ×9, first 2 shown]
	s_waitcnt vmcnt(0)
	v_lshl_add_u32 v71, v72, 4, v71
	ds_store_b128 v71, v[0:3]
	ds_store_b128 v71, v[24:27] offset:16
	ds_store_b128 v71, v[28:31] offset:32
	;; [unrolled: 1-line block ×16, first 2 shown]
.LBB0_13:
	s_or_b32 exec_lo, exec_lo, s33
	s_waitcnt lgkmcnt(0)
	s_barrier
	buffer_gl0_inv
	ds_load_b128 v[0:3], v224 offset:1360
	ds_load_b128 v[4:7], v224 offset:1088
	scratch_load_b128 v[14:17], off, off offset:520 ; 16-byte Folded Reload
	s_mov_b32 s8, 0x134454ff
	s_mov_b32 s9, 0xbfee6f0e
	;; [unrolled: 1-line block ×10, first 2 shown]
	s_waitcnt vmcnt(0) lgkmcnt(1)
	v_mul_f64 v[8:9], v[16:17], v[2:3]
	s_delay_alu instid0(VALU_DEP_1) | instskip(SKIP_1) | instid1(VALU_DEP_1)
	v_fma_f64 v[52:53], v[14:15], v[0:1], v[8:9]
	v_mul_f64 v[0:1], v[16:17], v[0:1]
	v_fma_f64 v[54:55], v[14:15], v[2:3], -v[0:1]
	ds_load_b128 v[0:3], v224 offset:1632
	ds_load_b128 v[8:11], v224 offset:1904
	s_waitcnt lgkmcnt(1)
	v_mul_f64 v[12:13], v[16:17], v[2:3]
	s_delay_alu instid0(VALU_DEP_1) | instskip(SKIP_1) | instid1(VALU_DEP_1)
	v_fma_f64 v[71:72], v[14:15], v[0:1], v[12:13]
	v_mul_f64 v[0:1], v[16:17], v[0:1]
	v_fma_f64 v[73:74], v[14:15], v[2:3], -v[0:1]
	ds_load_b128 v[0:3], v224 offset:2720
	ds_load_b128 v[12:15], v224 offset:2992
	scratch_load_b128 v[18:21], off, off offset:504 ; 16-byte Folded Reload
	s_waitcnt vmcnt(0) lgkmcnt(1)
	v_mul_f64 v[16:17], v[20:21], v[2:3]
	s_delay_alu instid0(VALU_DEP_1) | instskip(SKIP_1) | instid1(VALU_DEP_1)
	v_fma_f64 v[56:57], v[18:19], v[0:1], v[16:17]
	v_mul_f64 v[0:1], v[20:21], v[0:1]
	v_fma_f64 v[58:59], v[18:19], v[2:3], -v[0:1]
	s_waitcnt lgkmcnt(0)
	v_mul_f64 v[0:1], v[20:21], v[14:15]
	s_delay_alu instid0(VALU_DEP_1) | instskip(SKIP_1) | instid1(VALU_DEP_1)
	v_fma_f64 v[75:76], v[18:19], v[12:13], v[0:1]
	v_mul_f64 v[0:1], v[20:21], v[12:13]
	v_fma_f64 v[77:78], v[18:19], v[14:15], -v[0:1]
	ds_load_b128 v[0:3], v224 offset:4080
	ds_load_b128 v[16:19], v224 offset:3808
	scratch_load_b128 v[22:25], off, off offset:488 ; 16-byte Folded Reload
	s_waitcnt vmcnt(0) lgkmcnt(1)
	v_mul_f64 v[12:13], v[24:25], v[2:3]
	s_delay_alu instid0(VALU_DEP_1) | instskip(SKIP_1) | instid1(VALU_DEP_2)
	v_fma_f64 v[60:61], v[22:23], v[0:1], v[12:13]
	v_mul_f64 v[0:1], v[24:25], v[0:1]
	v_add_f64 v[44:45], v[56:57], v[60:61]
	s_delay_alu instid0(VALU_DEP_2)
	v_fma_f64 v[62:63], v[22:23], v[2:3], -v[0:1]
	ds_load_b128 v[0:3], v224 offset:4352
	ds_load_b128 v[12:15], v224 offset:4624
	v_add_f64 v[113:114], v[56:57], -v[60:61]
	s_waitcnt lgkmcnt(1)
	v_mul_f64 v[20:21], v[24:25], v[2:3]
	v_add_f64 v[93:94], v[58:59], -v[62:63]
	s_delay_alu instid0(VALU_DEP_2) | instskip(SKIP_1) | instid1(VALU_DEP_1)
	v_fma_f64 v[79:80], v[22:23], v[0:1], v[20:21]
	v_mul_f64 v[0:1], v[24:25], v[0:1]
	v_fma_f64 v[81:82], v[22:23], v[2:3], -v[0:1]
	ds_load_b128 v[0:3], v224 offset:5440
	ds_load_b128 v[20:23], v224 offset:5712
	scratch_load_b128 v[26:29], off, off offset:456 ; 16-byte Folded Reload
	s_waitcnt vmcnt(0) lgkmcnt(1)
	v_mul_f64 v[24:25], v[28:29], v[2:3]
	s_delay_alu instid0(VALU_DEP_1) | instskip(SKIP_1) | instid1(VALU_DEP_2)
	v_fma_f64 v[67:68], v[26:27], v[0:1], v[24:25]
	v_mul_f64 v[0:1], v[28:29], v[0:1]
	v_add_f64 v[111:112], v[52:53], -v[67:68]
	s_delay_alu instid0(VALU_DEP_2) | instskip(SKIP_2) | instid1(VALU_DEP_2)
	v_fma_f64 v[69:70], v[26:27], v[2:3], -v[0:1]
	s_waitcnt lgkmcnt(0)
	v_mul_f64 v[0:1], v[28:29], v[22:23]
	v_add_f64 v[91:92], v[54:55], -v[69:70]
	s_delay_alu instid0(VALU_DEP_2) | instskip(SKIP_1) | instid1(VALU_DEP_1)
	v_fma_f64 v[83:84], v[26:27], v[20:21], v[0:1]
	v_mul_f64 v[0:1], v[28:29], v[20:21]
	v_fma_f64 v[85:86], v[26:27], v[22:23], -v[0:1]
	scratch_load_b128 v[20:23], off, off offset:600 ; 16-byte Folded Reload
	s_waitcnt vmcnt(0)
	v_mul_f64 v[0:1], v[22:23], v[10:11]
	s_delay_alu instid0(VALU_DEP_1) | instskip(SKIP_1) | instid1(VALU_DEP_1)
	v_fma_f64 v[95:96], v[20:21], v[8:9], v[0:1]
	v_mul_f64 v[0:1], v[22:23], v[8:9]
	v_fma_f64 v[97:98], v[20:21], v[10:11], -v[0:1]
	ds_load_b128 v[0:3], v224 offset:3264
	ds_load_b128 v[8:11], v224 offset:3536
	scratch_load_b128 v[22:25], off, off offset:584 ; 16-byte Folded Reload
	s_waitcnt vmcnt(0) lgkmcnt(1)
	v_mul_f64 v[20:21], v[24:25], v[2:3]
	s_delay_alu instid0(VALU_DEP_1) | instskip(SKIP_1) | instid1(VALU_DEP_1)
	v_fma_f64 v[99:100], v[22:23], v[0:1], v[20:21]
	v_mul_f64 v[0:1], v[24:25], v[0:1]
	v_fma_f64 v[101:102], v[22:23], v[2:3], -v[0:1]
	scratch_load_b128 v[20:23], off, off offset:568 ; 16-byte Folded Reload
	s_waitcnt vmcnt(0)
	v_mul_f64 v[0:1], v[22:23], v[14:15]
	s_delay_alu instid0(VALU_DEP_1) | instskip(SKIP_1) | instid1(VALU_DEP_2)
	v_fma_f64 v[103:104], v[20:21], v[12:13], v[0:1]
	v_mul_f64 v[0:1], v[22:23], v[12:13]
	v_add_f64 v[119:120], v[99:100], -v[103:104]
	s_delay_alu instid0(VALU_DEP_2)
	v_fma_f64 v[105:106], v[20:21], v[14:15], -v[0:1]
	ds_load_b128 v[0:3], v224 offset:5984
	ds_load_b128 v[12:15], v224 offset:6256
	scratch_load_b128 v[22:25], off, off offset:552 ; 16-byte Folded Reload
	v_add_f64 v[115:116], v[101:102], -v[105:106]
	s_waitcnt vmcnt(0) lgkmcnt(1)
	v_mul_f64 v[20:21], v[24:25], v[2:3]
	s_delay_alu instid0(VALU_DEP_1) | instskip(SKIP_1) | instid1(VALU_DEP_2)
	v_fma_f64 v[107:108], v[22:23], v[0:1], v[20:21]
	v_mul_f64 v[0:1], v[24:25], v[0:1]
	v_add_f64 v[121:122], v[95:96], -v[107:108]
	s_delay_alu instid0(VALU_DEP_2)
	v_fma_f64 v[109:110], v[22:23], v[2:3], -v[0:1]
	ds_load_b128 v[0:3], v224 offset:2176
	ds_load_b128 v[36:39], v224 offset:2448
	s_clause 0x1
	scratch_load_b128 v[22:25], off, off offset:928
	scratch_load_b128 v[26:29], off, off offset:944
	v_add_f64 v[117:118], v[97:98], -v[109:110]
	s_waitcnt vmcnt(1) lgkmcnt(1)
	v_mul_f64 v[20:21], v[24:25], v[2:3]
	s_delay_alu instid0(VALU_DEP_1) | instskip(SKIP_1) | instid1(VALU_DEP_1)
	v_fma_f64 v[20:21], v[22:23], v[0:1], v[20:21]
	v_mul_f64 v[0:1], v[24:25], v[0:1]
	v_fma_f64 v[22:23], v[22:23], v[2:3], -v[0:1]
	s_waitcnt vmcnt(0)
	v_mul_f64 v[0:1], v[28:29], v[10:11]
	s_delay_alu instid0(VALU_DEP_1) | instskip(SKIP_1) | instid1(VALU_DEP_1)
	v_fma_f64 v[24:25], v[26:27], v[8:9], v[0:1]
	v_mul_f64 v[0:1], v[28:29], v[8:9]
	v_fma_f64 v[26:27], v[26:27], v[10:11], -v[0:1]
	ds_load_b128 v[0:3], v224 offset:4896
	ds_load_b128 v[40:43], v224 offset:5168
	scratch_load_b128 v[30:33], off, off offset:976 ; 16-byte Folded Reload
	s_waitcnt vmcnt(0) lgkmcnt(1)
	v_mul_f64 v[8:9], v[32:33], v[2:3]
	s_delay_alu instid0(VALU_DEP_1) | instskip(SKIP_2) | instid1(VALU_DEP_1)
	v_fma_f64 v[28:29], v[30:31], v[0:1], v[8:9]
	scratch_load_b128 v[8:11], off, off offset:960 ; 16-byte Folded Reload
	v_mul_f64 v[0:1], v[32:33], v[0:1]
	v_fma_f64 v[30:31], v[30:31], v[2:3], -v[0:1]
	s_waitcnt vmcnt(0)
	v_mul_f64 v[0:1], v[10:11], v[14:15]
	s_delay_alu instid0(VALU_DEP_1)
	v_fma_f64 v[32:33], v[8:9], v[12:13], v[0:1]
	v_mul_f64 v[0:1], v[10:11], v[12:13]
	scratch_load_b128 v[10:13], off, off offset:1024 ; 16-byte Folded Reload
	v_fma_f64 v[34:35], v[8:9], v[14:15], -v[0:1]
	s_waitcnt vmcnt(0)
	v_mul_f64 v[0:1], v[12:13], v[38:39]
	s_delay_alu instid0(VALU_DEP_1) | instskip(SKIP_1) | instid1(VALU_DEP_1)
	v_fma_f64 v[8:9], v[10:11], v[36:37], v[0:1]
	v_mul_f64 v[0:1], v[12:13], v[36:37]
	v_fma_f64 v[0:1], v[10:11], v[38:39], -v[0:1]
	scratch_load_b128 v[10:13], off, off offset:992 ; 16-byte Folded Reload
	ds_load_b128 v[36:39], v224 offset:6528
	s_waitcnt vmcnt(0)
	v_mul_f64 v[2:3], v[12:13], v[18:19]
	s_delay_alu instid0(VALU_DEP_1) | instskip(SKIP_1) | instid1(VALU_DEP_1)
	v_fma_f64 v[14:15], v[10:11], v[16:17], v[2:3]
	v_mul_f64 v[2:3], v[12:13], v[16:17]
	v_fma_f64 v[2:3], v[10:11], v[18:19], -v[2:3]
	scratch_load_b128 v[16:19], off, off offset:1040 ; 16-byte Folded Reload
	s_waitcnt vmcnt(0) lgkmcnt(1)
	v_mul_f64 v[10:11], v[18:19], v[42:43]
	s_delay_alu instid0(VALU_DEP_1) | instskip(SKIP_1) | instid1(VALU_DEP_1)
	v_fma_f64 v[12:13], v[16:17], v[40:41], v[10:11]
	v_mul_f64 v[10:11], v[18:19], v[40:41]
	v_fma_f64 v[10:11], v[16:17], v[42:43], -v[10:11]
	scratch_load_b128 v[40:43], off, off offset:1008 ; 16-byte Folded Reload
	s_waitcnt vmcnt(0) lgkmcnt(0)
	v_mul_f64 v[16:17], v[42:43], v[38:39]
	s_delay_alu instid0(VALU_DEP_1) | instskip(SKIP_2) | instid1(VALU_DEP_2)
	v_fma_f64 v[18:19], v[40:41], v[36:37], v[16:17]
	v_mul_f64 v[16:17], v[42:43], v[36:37]
	v_add_f64 v[36:37], v[52:53], -v[56:57]
	v_fma_f64 v[16:17], v[40:41], v[38:39], -v[16:17]
	v_add_f64 v[38:39], v[67:68], -v[60:61]
	s_delay_alu instid0(VALU_DEP_1) | instskip(SKIP_2) | instid1(VALU_DEP_1)
	v_add_f64 v[48:49], v[36:37], v[38:39]
	v_add_f64 v[36:37], v[54:55], -v[58:59]
	v_add_f64 v[38:39], v[69:70], -v[62:63]
	v_add_f64 v[50:51], v[36:37], v[38:39]
	ds_load_b128 v[36:39], v224
	ds_load_b128 v[40:43], v224 offset:272
	s_waitcnt lgkmcnt(1)
	v_fma_f64 v[87:88], v[44:45], -0.5, v[36:37]
	v_add_f64 v[44:45], v[58:59], v[62:63]
	s_delay_alu instid0(VALU_DEP_1) | instskip(NEXT) | instid1(VALU_DEP_3)
	v_fma_f64 v[89:90], v[44:45], -0.5, v[38:39]
	v_fma_f64 v[44:45], v[91:92], s[8:9], v[87:88]
	v_fma_f64 v[87:88], v[91:92], s[14:15], v[87:88]
	s_delay_alu instid0(VALU_DEP_3) | instskip(SKIP_1) | instid1(VALU_DEP_4)
	v_fma_f64 v[46:47], v[111:112], s[14:15], v[89:90]
	v_fma_f64 v[89:90], v[111:112], s[8:9], v[89:90]
	v_fma_f64 v[44:45], v[93:94], s[0:1], v[44:45]
	s_delay_alu instid0(VALU_DEP_4) | instskip(NEXT) | instid1(VALU_DEP_4)
	v_fma_f64 v[87:88], v[93:94], s[2:3], v[87:88]
	v_fma_f64 v[46:47], v[113:114], s[2:3], v[46:47]
	s_delay_alu instid0(VALU_DEP_4) | instskip(NEXT) | instid1(VALU_DEP_4)
	v_fma_f64 v[89:90], v[113:114], s[0:1], v[89:90]
	v_fma_f64 v[44:45], v[48:49], s[16:17], v[44:45]
	s_delay_alu instid0(VALU_DEP_4) | instskip(SKIP_4) | instid1(VALU_DEP_4)
	v_fma_f64 v[48:49], v[48:49], s[16:17], v[87:88]
	v_add_f64 v[87:88], v[52:53], v[67:68]
	v_fma_f64 v[46:47], v[50:51], s[16:17], v[46:47]
	v_fma_f64 v[50:51], v[50:51], s[16:17], v[89:90]
	v_add_f64 v[89:90], v[54:55], v[69:70]
	v_fma_f64 v[87:88], v[87:88], -0.5, v[36:37]
	v_add_f64 v[36:37], v[36:37], v[52:53]
	v_add_f64 v[52:53], v[56:57], -v[52:53]
	s_delay_alu instid0(VALU_DEP_4) | instskip(SKIP_4) | instid1(VALU_DEP_4)
	v_fma_f64 v[89:90], v[89:90], -0.5, v[38:39]
	v_add_f64 v[38:39], v[38:39], v[54:55]
	v_add_f64 v[54:55], v[58:59], -v[54:55]
	v_add_f64 v[36:37], v[36:37], v[56:57]
	v_add_f64 v[56:57], v[60:61], -v[67:68]
	;; [unrolled: 2-line block ×3, first 2 shown]
	s_delay_alu instid0(VALU_DEP_4)
	v_add_f64 v[36:37], v[36:37], v[60:61]
	v_fma_f64 v[60:61], v[93:94], s[14:15], v[87:88]
	v_add_f64 v[56:57], v[52:53], v[56:57]
	v_add_f64 v[38:39], v[38:39], v[62:63]
	v_fma_f64 v[62:63], v[93:94], s[8:9], v[87:88]
	v_add_f64 v[36:37], v[36:37], v[67:68]
	v_fma_f64 v[67:68], v[113:114], s[8:9], v[89:90]
	v_add_f64 v[58:59], v[54:55], v[58:59]
	v_fma_f64 v[52:53], v[91:92], s[0:1], v[60:61]
	v_add_f64 v[93:94], v[77:78], -v[81:82]
	v_add_f64 v[38:39], v[38:39], v[69:70]
	v_fma_f64 v[69:70], v[113:114], s[14:15], v[89:90]
	v_fma_f64 v[60:61], v[91:92], s[2:3], v[62:63]
	;; [unrolled: 1-line block ×3, first 2 shown]
	v_add_f64 v[91:92], v[73:74], -v[85:86]
	v_fma_f64 v[52:53], v[56:57], s[16:17], v[52:53]
	v_add_f64 v[113:114], v[75:76], -v[79:80]
	v_fma_f64 v[62:63], v[111:112], s[0:1], v[69:70]
	v_fma_f64 v[56:57], v[56:57], s[16:17], v[60:61]
	;; [unrolled: 1-line block ×3, first 2 shown]
	v_add_f64 v[60:61], v[71:72], -v[75:76]
	v_add_f64 v[111:112], v[71:72], -v[83:84]
	v_fma_f64 v[58:59], v[58:59], s[16:17], v[62:63]
	v_add_f64 v[62:63], v[83:84], -v[79:80]
	s_delay_alu instid0(VALU_DEP_1) | instskip(SKIP_2) | instid1(VALU_DEP_1)
	v_add_f64 v[67:68], v[60:61], v[62:63]
	v_add_f64 v[60:61], v[73:74], -v[77:78]
	v_add_f64 v[62:63], v[85:86], -v[81:82]
	v_add_f64 v[69:70], v[60:61], v[62:63]
	v_add_f64 v[60:61], v[75:76], v[79:80]
	s_waitcnt lgkmcnt(0)
	s_delay_alu instid0(VALU_DEP_1) | instskip(SKIP_1) | instid1(VALU_DEP_1)
	v_fma_f64 v[87:88], v[60:61], -0.5, v[40:41]
	v_add_f64 v[60:61], v[77:78], v[81:82]
	v_fma_f64 v[89:90], v[60:61], -0.5, v[42:43]
	s_delay_alu instid0(VALU_DEP_3) | instskip(SKIP_1) | instid1(VALU_DEP_3)
	v_fma_f64 v[60:61], v[91:92], s[8:9], v[87:88]
	v_fma_f64 v[87:88], v[91:92], s[14:15], v[87:88]
	;; [unrolled: 1-line block ×4, first 2 shown]
	s_delay_alu instid0(VALU_DEP_4) | instskip(NEXT) | instid1(VALU_DEP_4)
	v_fma_f64 v[60:61], v[93:94], s[0:1], v[60:61]
	v_fma_f64 v[87:88], v[93:94], s[2:3], v[87:88]
	s_delay_alu instid0(VALU_DEP_4) | instskip(NEXT) | instid1(VALU_DEP_4)
	v_fma_f64 v[62:63], v[113:114], s[2:3], v[62:63]
	v_fma_f64 v[89:90], v[113:114], s[0:1], v[89:90]
	;; [unrolled: 3-line block ×3, first 2 shown]
	v_add_f64 v[87:88], v[71:72], v[83:84]
	v_fma_f64 v[62:63], v[69:70], s[16:17], v[62:63]
	v_fma_f64 v[69:70], v[69:70], s[16:17], v[89:90]
	v_add_f64 v[89:90], v[73:74], v[85:86]
	s_delay_alu instid0(VALU_DEP_4) | instskip(SKIP_2) | instid1(VALU_DEP_4)
	v_fma_f64 v[87:88], v[87:88], -0.5, v[40:41]
	v_add_f64 v[40:41], v[40:41], v[71:72]
	v_add_f64 v[71:72], v[75:76], -v[71:72]
	v_fma_f64 v[89:90], v[89:90], -0.5, v[42:43]
	v_add_f64 v[42:43], v[42:43], v[73:74]
	v_add_f64 v[73:74], v[77:78], -v[73:74]
	v_add_f64 v[40:41], v[40:41], v[75:76]
	v_add_f64 v[75:76], v[79:80], -v[83:84]
	s_delay_alu instid0(VALU_DEP_4) | instskip(SKIP_1) | instid1(VALU_DEP_4)
	v_add_f64 v[42:43], v[42:43], v[77:78]
	v_add_f64 v[77:78], v[81:82], -v[85:86]
	v_add_f64 v[40:41], v[40:41], v[79:80]
	v_fma_f64 v[79:80], v[93:94], s[14:15], v[87:88]
	v_add_f64 v[75:76], v[71:72], v[75:76]
	v_add_f64 v[42:43], v[42:43], v[81:82]
	v_fma_f64 v[81:82], v[93:94], s[8:9], v[87:88]
	v_add_f64 v[40:41], v[40:41], v[83:84]
	v_fma_f64 v[83:84], v[113:114], s[8:9], v[89:90]
	;; [unrolled: 2-line block ×3, first 2 shown]
	v_add_f64 v[87:88], v[95:96], v[107:108]
	v_add_f64 v[42:43], v[42:43], v[85:86]
	v_fma_f64 v[85:86], v[113:114], s[14:15], v[89:90]
	v_fma_f64 v[79:80], v[91:92], s[2:3], v[81:82]
	;; [unrolled: 1-line block ×4, first 2 shown]
	s_delay_alu instid0(VALU_DEP_4) | instskip(NEXT) | instid1(VALU_DEP_4)
	v_fma_f64 v[81:82], v[111:112], s[0:1], v[85:86]
	v_fma_f64 v[75:76], v[75:76], s[16:17], v[79:80]
	s_delay_alu instid0(VALU_DEP_4) | instskip(SKIP_1) | instid1(VALU_DEP_4)
	v_fma_f64 v[73:74], v[77:78], s[16:17], v[73:74]
	v_add_f64 v[79:80], v[99:100], -v[95:96]
	v_fma_f64 v[77:78], v[77:78], s[16:17], v[81:82]
	v_add_f64 v[81:82], v[103:104], -v[107:108]
	s_delay_alu instid0(VALU_DEP_1) | instskip(SKIP_2) | instid1(VALU_DEP_1)
	v_add_f64 v[91:92], v[79:80], v[81:82]
	v_add_f64 v[79:80], v[101:102], -v[97:98]
	v_add_f64 v[81:82], v[105:106], -v[109:110]
	v_add_f64 v[93:94], v[79:80], v[81:82]
	ds_load_b128 v[79:82], v224 offset:544
	ds_load_b128 v[83:86], v224 offset:816
	s_waitcnt lgkmcnt(0)
	s_barrier
	buffer_gl0_inv
	ds_store_b128 v224, v[36:39]
	ds_store_b128 v224, v[44:47] offset:272
	ds_store_b128 v224, v[52:55] offset:544
	;; [unrolled: 1-line block ×9, first 2 shown]
	scratch_load_b32 v40, off, off offset:920 ; 4-byte Folded Reload
	v_add_f64 v[42:43], v[28:29], -v[32:33]
	v_add_f64 v[58:59], v[22:23], -v[34:35]
	v_add_f64 v[56:57], v[26:27], -v[30:31]
	v_add_f64 v[60:61], v[24:25], -v[28:29]
	v_add_f64 v[62:63], v[20:21], -v[32:33]
	v_fma_f64 v[111:112], v[87:88], -0.5, v[79:80]
	v_add_f64 v[87:88], v[97:98], v[109:110]
	v_add_f64 v[36:37], v[83:84], v[20:21]
	;; [unrolled: 1-line block ×3, first 2 shown]
	s_delay_alu instid0(VALU_DEP_3)
	v_fma_f64 v[113:114], v[87:88], -0.5, v[81:82]
	v_fma_f64 v[87:88], v[115:116], s[14:15], v[111:112]
	v_fma_f64 v[111:112], v[115:116], s[8:9], v[111:112]
	v_add_f64 v[36:37], v[36:37], v[24:25]
	v_add_f64 v[38:39], v[38:39], v[26:27]
	v_fma_f64 v[89:90], v[119:120], s[8:9], v[113:114]
	v_fma_f64 v[113:114], v[119:120], s[14:15], v[113:114]
	;; [unrolled: 1-line block ×4, first 2 shown]
	v_add_f64 v[36:37], v[36:37], v[28:29]
	v_add_f64 v[38:39], v[38:39], v[30:31]
	v_fma_f64 v[89:90], v[121:122], s[2:3], v[89:90]
	v_fma_f64 v[113:114], v[121:122], s[0:1], v[113:114]
	;; [unrolled: 1-line block ×4, first 2 shown]
	v_add_f64 v[111:112], v[99:100], v[103:104]
	v_add_f64 v[36:37], v[36:37], v[32:33]
	;; [unrolled: 1-line block ×3, first 2 shown]
	v_fma_f64 v[89:90], v[93:94], s[16:17], v[89:90]
	v_fma_f64 v[93:94], v[93:94], s[16:17], v[113:114]
	v_add_f64 v[113:114], v[101:102], v[105:106]
	v_fma_f64 v[111:112], v[111:112], -0.5, v[79:80]
	v_add_f64 v[79:80], v[79:80], v[95:96]
	v_add_f64 v[95:96], v[95:96], -v[99:100]
	s_delay_alu instid0(VALU_DEP_4) | instskip(SKIP_4) | instid1(VALU_DEP_4)
	v_fma_f64 v[113:114], v[113:114], -0.5, v[81:82]
	v_add_f64 v[81:82], v[81:82], v[97:98]
	v_add_f64 v[97:98], v[97:98], -v[101:102]
	v_add_f64 v[79:80], v[79:80], v[99:100]
	v_add_f64 v[99:100], v[107:108], -v[103:104]
	v_add_f64 v[81:82], v[81:82], v[101:102]
	v_add_f64 v[101:102], v[109:110], -v[105:106]
	s_delay_alu instid0(VALU_DEP_4)
	v_add_f64 v[79:80], v[79:80], v[103:104]
	v_fma_f64 v[103:104], v[117:118], s[8:9], v[111:112]
	v_add_f64 v[99:100], v[95:96], v[99:100]
	v_add_f64 v[81:82], v[81:82], v[105:106]
	v_fma_f64 v[105:106], v[117:118], s[14:15], v[111:112]
	v_add_f64 v[79:80], v[79:80], v[107:108]
	v_fma_f64 v[107:108], v[121:122], s[14:15], v[113:114]
	;; [unrolled: 2-line block ×4, first 2 shown]
	v_fma_f64 v[103:104], v[115:116], s[2:3], v[105:106]
	v_fma_f64 v[97:98], v[119:120], s[2:3], v[107:108]
	;; [unrolled: 1-line block ×3, first 2 shown]
	s_delay_alu instid0(VALU_DEP_4) | instskip(NEXT) | instid1(VALU_DEP_4)
	v_fma_f64 v[105:106], v[119:120], s[0:1], v[109:110]
	v_fma_f64 v[99:100], v[99:100], s[16:17], v[103:104]
	s_delay_alu instid0(VALU_DEP_4)
	v_fma_f64 v[97:98], v[101:102], s[16:17], v[97:98]
	s_waitcnt vmcnt(0)
	ds_store_b128 v40, v[79:82] offset:2720
	ds_store_b128 v40, v[95:98] offset:2992
	;; [unrolled: 1-line block ×4, first 2 shown]
	v_fma_f64 v[101:102], v[101:102], s[16:17], v[105:106]
	ds_store_b128 v40, v[99:102] offset:3808
	v_add_f64 v[40:41], v[20:21], v[32:33]
	s_delay_alu instid0(VALU_DEP_1) | instskip(SKIP_1) | instid1(VALU_DEP_1)
	v_fma_f64 v[44:45], v[40:41], -0.5, v[83:84]
	v_add_f64 v[40:41], v[22:23], v[34:35]
	v_fma_f64 v[46:47], v[40:41], -0.5, v[85:86]
	v_add_f64 v[40:41], v[24:25], v[28:29]
	s_delay_alu instid0(VALU_DEP_1) | instskip(SKIP_1) | instid1(VALU_DEP_1)
	v_fma_f64 v[48:49], v[40:41], -0.5, v[83:84]
	v_add_f64 v[40:41], v[26:27], v[30:31]
	v_fma_f64 v[50:51], v[40:41], -0.5, v[85:86]
	v_add_f64 v[40:41], v[24:25], -v[20:21]
	v_add_f64 v[20:21], v[20:21], -v[24:25]
	;; [unrolled: 1-line block ×3, first 2 shown]
	v_fma_f64 v[28:29], v[58:59], s[8:9], v[48:49]
	v_fma_f64 v[32:33], v[62:63], s[14:15], v[50:51]
	v_add_f64 v[52:53], v[40:41], v[42:43]
	v_add_f64 v[40:41], v[26:27], -v[22:23]
	v_add_f64 v[42:43], v[30:31], -v[34:35]
	;; [unrolled: 1-line block ×4, first 2 shown]
	v_fma_f64 v[30:31], v[58:59], s[14:15], v[48:49]
	v_add_f64 v[24:25], v[20:21], v[24:25]
	v_fma_f64 v[20:21], v[56:57], s[0:1], v[28:29]
	v_fma_f64 v[34:35], v[62:63], s[8:9], v[50:51]
	v_add_f64 v[54:55], v[40:41], v[42:43]
	v_fma_f64 v[40:41], v[56:57], s[14:15], v[44:45]
	v_fma_f64 v[42:43], v[60:61], s[8:9], v[46:47]
	;; [unrolled: 1-line block ×6, first 2 shown]
	v_add_f64 v[26:27], v[22:23], v[26:27]
	v_fma_f64 v[22:23], v[60:61], s[2:3], v[32:33]
	v_fma_f64 v[30:31], v[60:61], s[0:1], v[34:35]
	v_add_f64 v[32:33], v[0:1], -v[16:17]
	v_fma_f64 v[40:41], v[58:59], s[0:1], v[40:41]
	v_fma_f64 v[42:43], v[62:63], s[2:3], v[42:43]
	;; [unrolled: 1-line block ×3, first 2 shown]
	scratch_load_b32 v28, off, off offset:656 ; 4-byte Folded Reload
	v_fma_f64 v[44:45], v[58:59], s[2:3], v[44:45]
	v_fma_f64 v[46:47], v[62:63], s[0:1], v[46:47]
	;; [unrolled: 1-line block ×4, first 2 shown]
	v_add_f64 v[30:31], v[2:3], -v[10:11]
	v_fma_f64 v[40:41], v[52:53], s[16:17], v[40:41]
	v_fma_f64 v[42:43], v[54:55], s[16:17], v[42:43]
	;; [unrolled: 1-line block ×4, first 2 shown]
	s_waitcnt vmcnt(0)
	ds_store_b128 v28, v[36:39] offset:4080
	ds_store_b128 v28, v[20:23] offset:4352
	ds_store_b128 v28, v[40:43] offset:4624
	ds_store_b128 v28, v[44:47] offset:4896
	ds_store_b128 v28, v[24:27] offset:5168
	v_add_f64 v[20:21], v[14:15], -v[8:9]
	v_add_f64 v[22:23], v[12:13], -v[18:19]
	;; [unrolled: 1-line block ×4, first 2 shown]
	s_delay_alu instid0(VALU_DEP_3) | instskip(SKIP_2) | instid1(VALU_DEP_1)
	v_add_f64 v[24:25], v[20:21], v[22:23]
	v_add_f64 v[20:21], v[2:3], -v[0:1]
	v_add_f64 v[22:23], v[10:11], -v[16:17]
	v_add_f64 v[26:27], v[20:21], v[22:23]
	v_add_f64 v[20:21], v[8:9], v[18:19]
	;; [unrolled: 1-line block ×3, first 2 shown]
	s_delay_alu instid0(VALU_DEP_2) | instskip(NEXT) | instid1(VALU_DEP_2)
	v_fma_f64 v[28:29], v[20:21], -0.5, v[4:5]
	v_fma_f64 v[34:35], v[22:23], -0.5, v[6:7]
	s_delay_alu instid0(VALU_DEP_2) | instskip(SKIP_1) | instid1(VALU_DEP_3)
	v_fma_f64 v[20:21], v[30:31], s[14:15], v[28:29]
	v_fma_f64 v[28:29], v[30:31], s[8:9], v[28:29]
	;; [unrolled: 1-line block ×4, first 2 shown]
	s_delay_alu instid0(VALU_DEP_4) | instskip(NEXT) | instid1(VALU_DEP_4)
	v_fma_f64 v[20:21], v[32:33], s[0:1], v[20:21]
	v_fma_f64 v[28:29], v[32:33], s[2:3], v[28:29]
	s_delay_alu instid0(VALU_DEP_4) | instskip(NEXT) | instid1(VALU_DEP_4)
	v_fma_f64 v[22:23], v[38:39], s[2:3], v[22:23]
	v_fma_f64 v[34:35], v[38:39], s[0:1], v[34:35]
	;; [unrolled: 3-line block ×3, first 2 shown]
	v_add_f64 v[28:29], v[14:15], v[12:13]
	v_fma_f64 v[22:23], v[26:27], s[16:17], v[22:23]
	v_fma_f64 v[26:27], v[26:27], s[16:17], v[34:35]
	v_add_f64 v[34:35], v[2:3], v[10:11]
	s_delay_alu instid0(VALU_DEP_4) | instskip(SKIP_2) | instid1(VALU_DEP_4)
	v_fma_f64 v[28:29], v[28:29], -0.5, v[4:5]
	v_add_f64 v[4:5], v[4:5], v[8:9]
	v_add_f64 v[8:9], v[8:9], -v[14:15]
	v_fma_f64 v[34:35], v[34:35], -0.5, v[6:7]
	v_add_f64 v[6:7], v[6:7], v[0:1]
	v_add_f64 v[0:1], v[0:1], -v[2:3]
	v_add_f64 v[4:5], v[4:5], v[14:15]
	v_fma_f64 v[14:15], v[32:33], s[8:9], v[28:29]
	v_fma_f64 v[28:29], v[32:33], s[14:15], v[28:29]
	v_add_f64 v[6:7], v[6:7], v[2:3]
	v_add_f64 v[2:3], v[16:17], -v[10:11]
	v_add_f64 v[4:5], v[4:5], v[12:13]
	v_add_f64 v[12:13], v[18:19], -v[12:13]
	s_delay_alu instid0(VALU_DEP_4) | instskip(SKIP_1) | instid1(VALU_DEP_4)
	v_add_f64 v[6:7], v[6:7], v[10:11]
	v_fma_f64 v[10:11], v[38:39], s[14:15], v[34:35]
	v_add_f64 v[4:5], v[4:5], v[18:19]
	s_delay_alu instid0(VALU_DEP_4)
	v_add_f64 v[8:9], v[8:9], v[12:13]
	v_fma_f64 v[12:13], v[30:31], s[0:1], v[14:15]
	v_add_f64 v[18:19], v[0:1], v[2:3]
	v_add_f64 v[6:7], v[6:7], v[16:17]
	v_fma_f64 v[16:17], v[38:39], s[8:9], v[34:35]
	v_fma_f64 v[2:3], v[36:37], s[2:3], v[10:11]
	;; [unrolled: 1-line block ×4, first 2 shown]
	scratch_load_b32 v12, off, off offset:648 ; 4-byte Folded Reload
	v_fma_f64 v[10:11], v[36:37], s[0:1], v[16:17]
	v_fma_f64 v[2:3], v[18:19], s[16:17], v[2:3]
	;; [unrolled: 1-line block ×3, first 2 shown]
	s_delay_alu instid0(VALU_DEP_3)
	v_fma_f64 v[10:11], v[18:19], s[16:17], v[10:11]
	s_waitcnt vmcnt(0)
	ds_store_b128 v12, v[4:7] offset:5440
	ds_store_b128 v12, v[0:3] offset:5712
	;; [unrolled: 1-line block ×5, first 2 shown]
	s_waitcnt lgkmcnt(0)
	s_barrier
	buffer_gl0_inv
	ds_load_b128 v[4:7], v224 offset:2720
	ds_load_b128 v[0:3], v224 offset:2992
	scratch_load_b128 v[10:13], off, off offset:632 ; 16-byte Folded Reload
	s_waitcnt vmcnt(0) lgkmcnt(1)
	v_mul_f64 v[8:9], v[12:13], v[6:7]
	s_delay_alu instid0(VALU_DEP_1) | instskip(SKIP_1) | instid1(VALU_DEP_1)
	v_fma_f64 v[14:15], v[10:11], v[4:5], v[8:9]
	v_mul_f64 v[4:5], v[12:13], v[4:5]
	v_fma_f64 v[12:13], v[10:11], v[6:7], -v[4:5]
	ds_load_b128 v[8:11], v224 offset:4080
	ds_load_b128 v[4:7], v224 offset:3808
	scratch_load_b128 v[20:23], off, off offset:616 ; 16-byte Folded Reload
	s_waitcnt vmcnt(0) lgkmcnt(1)
	v_mul_f64 v[16:17], v[22:23], v[10:11]
	s_delay_alu instid0(VALU_DEP_1) | instskip(SKIP_1) | instid1(VALU_DEP_2)
	v_fma_f64 v[18:19], v[20:21], v[8:9], v[16:17]
	v_mul_f64 v[8:9], v[22:23], v[8:9]
	v_add_f64 v[113:114], v[14:15], -v[18:19]
	s_delay_alu instid0(VALU_DEP_2)
	v_fma_f64 v[16:17], v[20:21], v[10:11], -v[8:9]
	ds_load_b128 v[8:11], v224 offset:1360
	ds_load_b128 v[20:23], v224 offset:1088
	scratch_load_b128 v[26:29], off, off offset:472 ; 16-byte Folded Reload
	s_waitcnt vmcnt(0) lgkmcnt(1)
	v_mul_f64 v[24:25], v[28:29], v[10:11]
	s_delay_alu instid0(VALU_DEP_1) | instskip(SKIP_1) | instid1(VALU_DEP_1)
	v_fma_f64 v[32:33], v[26:27], v[8:9], v[24:25]
	v_mul_f64 v[8:9], v[28:29], v[8:9]
	v_fma_f64 v[34:35], v[26:27], v[10:11], -v[8:9]
	ds_load_b128 v[8:11], v224 offset:5440
	ds_load_b128 v[24:27], v224 offset:5712
	scratch_load_b128 v[38:41], off, off offset:536 ; 16-byte Folded Reload
	s_waitcnt vmcnt(0) lgkmcnt(1)
	v_mul_f64 v[28:29], v[40:41], v[10:11]
	s_delay_alu instid0(VALU_DEP_1) | instskip(SKIP_1) | instid1(VALU_DEP_2)
	v_fma_f64 v[36:37], v[38:39], v[8:9], v[28:29]
	v_mul_f64 v[8:9], v[40:41], v[8:9]
	v_add_f64 v[111:112], v[32:33], -v[36:37]
	s_delay_alu instid0(VALU_DEP_2)
	v_fma_f64 v[38:39], v[38:39], v[10:11], -v[8:9]
	ds_load_b128 v[8:11], v224 offset:1632
	ds_load_b128 v[28:31], v224 offset:1904
	s_clause 0x1
	scratch_load_b128 v[42:45], off, off offset:696
	scratch_load_b128 v[46:49], off, off offset:664
	s_waitcnt vmcnt(1) lgkmcnt(1)
	v_mul_f64 v[40:41], v[44:45], v[10:11]
	s_delay_alu instid0(VALU_DEP_1) | instskip(SKIP_1) | instid1(VALU_DEP_1)
	v_fma_f64 v[40:41], v[42:43], v[8:9], v[40:41]
	v_mul_f64 v[8:9], v[44:45], v[8:9]
	v_fma_f64 v[42:43], v[42:43], v[10:11], -v[8:9]
	s_waitcnt vmcnt(0)
	v_mul_f64 v[8:9], v[48:49], v[2:3]
	s_delay_alu instid0(VALU_DEP_1) | instskip(SKIP_1) | instid1(VALU_DEP_1)
	v_fma_f64 v[44:45], v[46:47], v[0:1], v[8:9]
	v_mul_f64 v[0:1], v[48:49], v[0:1]
	v_fma_f64 v[46:47], v[46:47], v[2:3], -v[0:1]
	ds_load_b128 v[0:3], v224 offset:4352
	ds_load_b128 v[8:11], v224 offset:4624
	s_clause 0x1
	scratch_load_b128 v[50:53], off, off offset:712
	scratch_load_b128 v[54:57], off, off offset:680
	s_waitcnt vmcnt(1) lgkmcnt(1)
	v_mul_f64 v[48:49], v[52:53], v[2:3]
	s_delay_alu instid0(VALU_DEP_1) | instskip(SKIP_1) | instid1(VALU_DEP_1)
	v_fma_f64 v[48:49], v[50:51], v[0:1], v[48:49]
	v_mul_f64 v[0:1], v[52:53], v[0:1]
	v_fma_f64 v[50:51], v[50:51], v[2:3], -v[0:1]
	s_waitcnt vmcnt(0)
	v_mul_f64 v[0:1], v[56:57], v[26:27]
	s_delay_alu instid0(VALU_DEP_1) | instskip(SKIP_1) | instid1(VALU_DEP_1)
	v_fma_f64 v[52:53], v[54:55], v[24:25], v[0:1]
	v_mul_f64 v[0:1], v[56:57], v[24:25]
	v_fma_f64 v[54:55], v[54:55], v[26:27], -v[0:1]
	scratch_load_b128 v[24:27], off, off offset:760 ; 16-byte Folded Reload
	s_waitcnt vmcnt(0)
	v_mul_f64 v[0:1], v[26:27], v[30:31]
	s_delay_alu instid0(VALU_DEP_1) | instskip(SKIP_1) | instid1(VALU_DEP_1)
	v_fma_f64 v[60:61], v[24:25], v[28:29], v[0:1]
	v_mul_f64 v[0:1], v[26:27], v[28:29]
	v_fma_f64 v[62:63], v[24:25], v[30:31], -v[0:1]
	ds_load_b128 v[0:3], v224 offset:3264
	ds_load_b128 v[24:27], v224 offset:3536
	scratch_load_b128 v[56:59], off, off offset:728 ; 16-byte Folded Reload
	s_waitcnt vmcnt(0) lgkmcnt(1)
	v_mul_f64 v[28:29], v[58:59], v[2:3]
	s_delay_alu instid0(VALU_DEP_1) | instskip(SKIP_2) | instid1(VALU_DEP_1)
	v_fma_f64 v[67:68], v[56:57], v[0:1], v[28:29]
	scratch_load_b128 v[28:31], off, off offset:792 ; 16-byte Folded Reload
	v_mul_f64 v[0:1], v[58:59], v[0:1]
	v_fma_f64 v[69:70], v[56:57], v[2:3], -v[0:1]
	s_waitcnt vmcnt(0)
	v_mul_f64 v[0:1], v[30:31], v[10:11]
	s_delay_alu instid0(VALU_DEP_1) | instskip(SKIP_1) | instid1(VALU_DEP_2)
	v_fma_f64 v[71:72], v[28:29], v[8:9], v[0:1]
	v_mul_f64 v[0:1], v[30:31], v[8:9]
	v_add_f64 v[119:120], v[67:68], -v[71:72]
	s_delay_alu instid0(VALU_DEP_2)
	v_fma_f64 v[73:74], v[28:29], v[10:11], -v[0:1]
	ds_load_b128 v[0:3], v224 offset:5984
	ds_load_b128 v[8:11], v224 offset:6256
	scratch_load_b128 v[56:59], off, off offset:744 ; 16-byte Folded Reload
	v_add_f64 v[115:116], v[69:70], -v[73:74]
	s_waitcnt vmcnt(0) lgkmcnt(1)
	v_mul_f64 v[28:29], v[58:59], v[2:3]
	s_delay_alu instid0(VALU_DEP_1) | instskip(SKIP_1) | instid1(VALU_DEP_2)
	v_fma_f64 v[75:76], v[56:57], v[0:1], v[28:29]
	v_mul_f64 v[0:1], v[58:59], v[0:1]
	v_add_f64 v[121:122], v[60:61], -v[75:76]
	s_delay_alu instid0(VALU_DEP_2)
	v_fma_f64 v[77:78], v[56:57], v[2:3], -v[0:1]
	ds_load_b128 v[0:3], v224 offset:2176
	ds_load_b128 v[28:31], v224 offset:2448
	scratch_load_b128 v[81:84], off, off offset:824 ; 16-byte Folded Reload
	v_add_f64 v[117:118], v[62:63], -v[77:78]
	s_waitcnt vmcnt(0) lgkmcnt(1)
	v_mul_f64 v[56:57], v[83:84], v[2:3]
	s_delay_alu instid0(VALU_DEP_1) | instskip(SKIP_2) | instid1(VALU_DEP_1)
	v_fma_f64 v[79:80], v[81:82], v[0:1], v[56:57]
	scratch_load_b128 v[56:59], off, off offset:776 ; 16-byte Folded Reload
	v_mul_f64 v[0:1], v[83:84], v[0:1]
	v_fma_f64 v[81:82], v[81:82], v[2:3], -v[0:1]
	s_waitcnt vmcnt(0)
	v_mul_f64 v[0:1], v[58:59], v[26:27]
	s_delay_alu instid0(VALU_DEP_1) | instskip(SKIP_1) | instid1(VALU_DEP_1)
	v_fma_f64 v[83:84], v[56:57], v[24:25], v[0:1]
	v_mul_f64 v[0:1], v[58:59], v[24:25]
	v_fma_f64 v[85:86], v[56:57], v[26:27], -v[0:1]
	ds_load_b128 v[0:3], v224 offset:4896
	ds_load_b128 v[24:27], v224 offset:5168
	scratch_load_b128 v[89:92], off, off offset:840 ; 16-byte Folded Reload
	s_waitcnt vmcnt(0) lgkmcnt(1)
	v_mul_f64 v[56:57], v[91:92], v[2:3]
	s_delay_alu instid0(VALU_DEP_1) | instskip(SKIP_2) | instid1(VALU_DEP_1)
	v_fma_f64 v[87:88], v[89:90], v[0:1], v[56:57]
	scratch_load_b128 v[56:59], off, off offset:808 ; 16-byte Folded Reload
	v_mul_f64 v[0:1], v[91:92], v[0:1]
	v_fma_f64 v[89:90], v[89:90], v[2:3], -v[0:1]
	s_waitcnt vmcnt(0)
	v_mul_f64 v[0:1], v[58:59], v[10:11]
	s_delay_alu instid0(VALU_DEP_1) | instskip(SKIP_2) | instid1(VALU_DEP_2)
	v_fma_f64 v[91:92], v[56:57], v[8:9], v[0:1]
	v_mul_f64 v[0:1], v[58:59], v[8:9]
	v_add_f64 v[58:59], v[12:13], -v[16:17]
	v_fma_f64 v[93:94], v[56:57], v[10:11], -v[0:1]
	scratch_load_b128 v[8:11], off, off offset:888 ; 16-byte Folded Reload
	v_add_f64 v[56:57], v[34:35], -v[38:39]
	s_waitcnt vmcnt(0)
	v_mul_f64 v[0:1], v[10:11], v[30:31]
	s_delay_alu instid0(VALU_DEP_1) | instskip(SKIP_1) | instid1(VALU_DEP_1)
	v_fma_f64 v[95:96], v[8:9], v[28:29], v[0:1]
	v_mul_f64 v[0:1], v[10:11], v[28:29]
	v_fma_f64 v[97:98], v[8:9], v[30:31], -v[0:1]
	scratch_load_b128 v[8:11], off, off offset:856 ; 16-byte Folded Reload
	s_waitcnt vmcnt(0)
	v_mul_f64 v[0:1], v[10:11], v[6:7]
	s_delay_alu instid0(VALU_DEP_1)
	v_fma_f64 v[99:100], v[8:9], v[4:5], v[0:1]
	v_mul_f64 v[0:1], v[10:11], v[4:5]
	scratch_load_b128 v[2:5], off, off offset:904 ; 16-byte Folded Reload
	v_fma_f64 v[101:102], v[8:9], v[6:7], -v[0:1]
	scratch_load_b128 v[6:9], off, off offset:872 ; 16-byte Folded Reload
	s_waitcnt vmcnt(1) lgkmcnt(0)
	v_mul_f64 v[0:1], v[4:5], v[26:27]
	s_delay_alu instid0(VALU_DEP_1) | instskip(SKIP_1) | instid1(VALU_DEP_1)
	v_fma_f64 v[103:104], v[2:3], v[24:25], v[0:1]
	v_mul_f64 v[0:1], v[4:5], v[24:25]
	v_fma_f64 v[105:106], v[2:3], v[26:27], -v[0:1]
	ds_load_b128 v[0:3], v224 offset:6528
	s_waitcnt vmcnt(0) lgkmcnt(0)
	v_mul_f64 v[4:5], v[8:9], v[2:3]
	s_delay_alu instid0(VALU_DEP_1) | instskip(SKIP_2) | instid1(VALU_DEP_2)
	v_fma_f64 v[107:108], v[6:7], v[0:1], v[4:5]
	v_mul_f64 v[0:1], v[8:9], v[0:1]
	v_add_f64 v[8:9], v[14:15], v[18:19]
	v_fma_f64 v[109:110], v[6:7], v[2:3], -v[0:1]
	v_add_f64 v[0:1], v[32:33], -v[14:15]
	v_add_f64 v[2:3], v[36:37], -v[18:19]
	s_delay_alu instid0(VALU_DEP_1) | instskip(SKIP_2) | instid1(VALU_DEP_1)
	v_add_f64 v[24:25], v[0:1], v[2:3]
	v_add_f64 v[0:1], v[34:35], -v[12:13]
	v_add_f64 v[2:3], v[38:39], -v[16:17]
	v_add_f64 v[26:27], v[0:1], v[2:3]
	ds_load_b128 v[0:3], v224
	ds_load_b128 v[4:7], v224 offset:272
	s_waitcnt lgkmcnt(1)
	v_fma_f64 v[28:29], v[8:9], -0.5, v[0:1]
	v_add_f64 v[8:9], v[12:13], v[16:17]
	s_delay_alu instid0(VALU_DEP_1) | instskip(NEXT) | instid1(VALU_DEP_3)
	v_fma_f64 v[30:31], v[8:9], -0.5, v[2:3]
	v_fma_f64 v[8:9], v[56:57], s[8:9], v[28:29]
	v_fma_f64 v[28:29], v[56:57], s[14:15], v[28:29]
	s_delay_alu instid0(VALU_DEP_3) | instskip(SKIP_1) | instid1(VALU_DEP_4)
	v_fma_f64 v[10:11], v[111:112], s[14:15], v[30:31]
	v_fma_f64 v[30:31], v[111:112], s[8:9], v[30:31]
	;; [unrolled: 1-line block ×3, first 2 shown]
	s_delay_alu instid0(VALU_DEP_4) | instskip(NEXT) | instid1(VALU_DEP_4)
	v_fma_f64 v[28:29], v[58:59], s[2:3], v[28:29]
	v_fma_f64 v[10:11], v[113:114], s[2:3], v[10:11]
	s_delay_alu instid0(VALU_DEP_4) | instskip(NEXT) | instid1(VALU_DEP_4)
	v_fma_f64 v[30:31], v[113:114], s[0:1], v[30:31]
	v_fma_f64 v[8:9], v[24:25], s[16:17], v[8:9]
	s_delay_alu instid0(VALU_DEP_4) | instskip(SKIP_4) | instid1(VALU_DEP_4)
	v_fma_f64 v[24:25], v[24:25], s[16:17], v[28:29]
	v_add_f64 v[28:29], v[32:33], v[36:37]
	v_fma_f64 v[10:11], v[26:27], s[16:17], v[10:11]
	v_fma_f64 v[26:27], v[26:27], s[16:17], v[30:31]
	v_add_f64 v[30:31], v[34:35], v[38:39]
	v_fma_f64 v[28:29], v[28:29], -0.5, v[0:1]
	v_add_f64 v[0:1], v[0:1], v[32:33]
	s_delay_alu instid0(VALU_DEP_3) | instskip(SKIP_1) | instid1(VALU_DEP_3)
	v_fma_f64 v[30:31], v[30:31], -0.5, v[2:3]
	v_add_f64 v[2:3], v[2:3], v[34:35]
	v_add_f64 v[0:1], v[0:1], v[14:15]
	v_add_f64 v[14:15], v[14:15], -v[32:33]
	v_fma_f64 v[32:33], v[58:59], s[14:15], v[28:29]
	v_fma_f64 v[28:29], v[58:59], s[8:9], v[28:29]
	v_add_f64 v[58:59], v[46:47], -v[50:51]
	v_add_f64 v[2:3], v[2:3], v[12:13]
	v_add_f64 v[12:13], v[12:13], -v[34:35]
	v_add_f64 v[0:1], v[0:1], v[18:19]
	v_add_f64 v[18:19], v[18:19], -v[36:37]
	v_fma_f64 v[34:35], v[113:114], s[8:9], v[30:31]
	v_fma_f64 v[30:31], v[113:114], s[14:15], v[30:31]
	;; [unrolled: 1-line block ×3, first 2 shown]
	v_add_f64 v[113:114], v[44:45], -v[48:49]
	v_add_f64 v[2:3], v[2:3], v[16:17]
	v_add_f64 v[16:17], v[16:17], -v[38:39]
	v_add_f64 v[0:1], v[0:1], v[36:37]
	v_add_f64 v[18:19], v[14:15], v[18:19]
	v_fma_f64 v[14:15], v[56:57], s[0:1], v[32:33]
	v_fma_f64 v[30:31], v[111:112], s[0:1], v[30:31]
	v_add_f64 v[56:57], v[42:43], -v[54:55]
	v_add_f64 v[2:3], v[2:3], v[38:39]
	v_add_f64 v[32:33], v[12:13], v[16:17]
	v_fma_f64 v[16:17], v[111:112], s[2:3], v[34:35]
	v_add_f64 v[111:112], v[40:41], -v[52:53]
	v_fma_f64 v[12:13], v[18:19], s[16:17], v[14:15]
	s_delay_alu instid0(VALU_DEP_3) | instskip(SKIP_4) | instid1(VALU_DEP_1)
	v_fma_f64 v[14:15], v[32:33], s[16:17], v[16:17]
	v_fma_f64 v[16:17], v[18:19], s[16:17], v[28:29]
	;; [unrolled: 1-line block ×3, first 2 shown]
	v_add_f64 v[28:29], v[40:41], -v[44:45]
	v_add_f64 v[30:31], v[52:53], -v[48:49]
	v_add_f64 v[32:33], v[28:29], v[30:31]
	v_add_f64 v[28:29], v[42:43], -v[46:47]
	v_add_f64 v[30:31], v[54:55], -v[50:51]
	s_delay_alu instid0(VALU_DEP_1) | instskip(SKIP_2) | instid1(VALU_DEP_1)
	v_add_f64 v[34:35], v[28:29], v[30:31]
	v_add_f64 v[28:29], v[44:45], v[48:49]
	s_waitcnt lgkmcnt(0)
	v_fma_f64 v[36:37], v[28:29], -0.5, v[4:5]
	v_add_f64 v[28:29], v[46:47], v[50:51]
	s_delay_alu instid0(VALU_DEP_1) | instskip(NEXT) | instid1(VALU_DEP_3)
	v_fma_f64 v[38:39], v[28:29], -0.5, v[6:7]
	v_fma_f64 v[28:29], v[56:57], s[8:9], v[36:37]
	v_fma_f64 v[36:37], v[56:57], s[14:15], v[36:37]
	s_delay_alu instid0(VALU_DEP_3) | instskip(SKIP_1) | instid1(VALU_DEP_4)
	v_fma_f64 v[30:31], v[111:112], s[14:15], v[38:39]
	v_fma_f64 v[38:39], v[111:112], s[8:9], v[38:39]
	;; [unrolled: 1-line block ×3, first 2 shown]
	s_delay_alu instid0(VALU_DEP_4) | instskip(NEXT) | instid1(VALU_DEP_4)
	v_fma_f64 v[36:37], v[58:59], s[2:3], v[36:37]
	v_fma_f64 v[30:31], v[113:114], s[2:3], v[30:31]
	s_delay_alu instid0(VALU_DEP_4) | instskip(NEXT) | instid1(VALU_DEP_4)
	v_fma_f64 v[38:39], v[113:114], s[0:1], v[38:39]
	v_fma_f64 v[28:29], v[32:33], s[16:17], v[28:29]
	s_delay_alu instid0(VALU_DEP_4) | instskip(SKIP_4) | instid1(VALU_DEP_4)
	v_fma_f64 v[32:33], v[32:33], s[16:17], v[36:37]
	v_add_f64 v[36:37], v[40:41], v[52:53]
	v_fma_f64 v[30:31], v[34:35], s[16:17], v[30:31]
	v_fma_f64 v[34:35], v[34:35], s[16:17], v[38:39]
	v_add_f64 v[38:39], v[42:43], v[54:55]
	v_fma_f64 v[36:37], v[36:37], -0.5, v[4:5]
	v_add_f64 v[4:5], v[4:5], v[40:41]
	v_add_f64 v[40:41], v[44:45], -v[40:41]
	s_delay_alu instid0(VALU_DEP_4)
	v_fma_f64 v[38:39], v[38:39], -0.5, v[6:7]
	v_add_f64 v[6:7], v[6:7], v[42:43]
	v_add_f64 v[42:43], v[46:47], -v[42:43]
	v_add_f64 v[4:5], v[4:5], v[44:45]
	v_fma_f64 v[44:45], v[58:59], s[14:15], v[36:37]
	v_fma_f64 v[36:37], v[58:59], s[8:9], v[36:37]
	v_add_f64 v[6:7], v[6:7], v[46:47]
	v_add_f64 v[46:47], v[48:49], -v[52:53]
	v_add_f64 v[4:5], v[4:5], v[48:49]
	v_fma_f64 v[44:45], v[56:57], s[0:1], v[44:45]
	v_add_f64 v[48:49], v[50:51], -v[54:55]
	v_add_f64 v[6:7], v[6:7], v[50:51]
	v_add_f64 v[40:41], v[40:41], v[46:47]
	v_fma_f64 v[46:47], v[56:57], s[2:3], v[36:37]
	v_fma_f64 v[50:51], v[113:114], s[8:9], v[38:39]
	v_fma_f64 v[38:39], v[113:114], s[14:15], v[38:39]
	v_add_f64 v[42:43], v[42:43], v[48:49]
	v_add_f64 v[4:5], v[4:5], v[52:53]
	;; [unrolled: 1-line block ×4, first 2 shown]
	v_fma_f64 v[36:37], v[40:41], s[16:17], v[44:45]
	v_fma_f64 v[40:41], v[40:41], s[16:17], v[46:47]
	v_add_f64 v[44:45], v[67:68], -v[60:61]
	v_add_f64 v[46:47], v[71:72], -v[75:76]
	v_fma_f64 v[48:49], v[111:112], s[2:3], v[50:51]
	v_fma_f64 v[50:51], v[111:112], s[0:1], v[38:39]
	s_delay_alu instid0(VALU_DEP_3) | instskip(SKIP_4) | instid1(VALU_DEP_3)
	v_add_f64 v[56:57], v[44:45], v[46:47]
	v_add_f64 v[44:45], v[69:70], -v[62:63]
	v_add_f64 v[46:47], v[73:74], -v[77:78]
	v_fma_f64 v[38:39], v[42:43], s[16:17], v[48:49]
	v_fma_f64 v[42:43], v[42:43], s[16:17], v[50:51]
	v_add_f64 v[58:59], v[44:45], v[46:47]
	ds_load_b128 v[44:47], v224 offset:544
	ds_load_b128 v[48:51], v224 offset:816
	ds_store_b128 v224, v[0:3]
	v_add_f64 v[0:1], v[79:80], -v[83:84]
	v_add_f64 v[2:3], v[91:92], -v[87:88]
	s_waitcnt lgkmcnt(2)
	v_fma_f64 v[111:112], v[52:53], -0.5, v[44:45]
	v_add_f64 v[52:53], v[62:63], v[77:78]
	s_delay_alu instid0(VALU_DEP_1) | instskip(NEXT) | instid1(VALU_DEP_3)
	v_fma_f64 v[113:114], v[52:53], -0.5, v[46:47]
	v_fma_f64 v[52:53], v[115:116], s[14:15], v[111:112]
	v_fma_f64 v[111:112], v[115:116], s[8:9], v[111:112]
	s_delay_alu instid0(VALU_DEP_3) | instskip(NEXT) | instid1(VALU_DEP_3)
	v_fma_f64 v[54:55], v[119:120], s[8:9], v[113:114]
	v_fma_f64 v[52:53], v[117:118], s[0:1], v[52:53]
	;; [unrolled: 1-line block ×3, first 2 shown]
	s_delay_alu instid0(VALU_DEP_4) | instskip(NEXT) | instid1(VALU_DEP_4)
	v_fma_f64 v[111:112], v[117:118], s[2:3], v[111:112]
	v_fma_f64 v[54:55], v[121:122], s[2:3], v[54:55]
	s_delay_alu instid0(VALU_DEP_4) | instskip(NEXT) | instid1(VALU_DEP_4)
	v_fma_f64 v[52:53], v[56:57], s[16:17], v[52:53]
	v_fma_f64 v[113:114], v[121:122], s[0:1], v[113:114]
	s_delay_alu instid0(VALU_DEP_4) | instskip(SKIP_2) | instid1(VALU_DEP_4)
	v_fma_f64 v[56:57], v[56:57], s[16:17], v[111:112]
	v_add_f64 v[111:112], v[67:68], v[71:72]
	v_fma_f64 v[54:55], v[58:59], s[16:17], v[54:55]
	v_fma_f64 v[58:59], v[58:59], s[16:17], v[113:114]
	v_add_f64 v[113:114], v[69:70], v[73:74]
	s_delay_alu instid0(VALU_DEP_4) | instskip(SKIP_2) | instid1(VALU_DEP_4)
	v_fma_f64 v[111:112], v[111:112], -0.5, v[44:45]
	v_add_f64 v[44:45], v[44:45], v[60:61]
	v_add_f64 v[60:61], v[60:61], -v[67:68]
	v_fma_f64 v[113:114], v[113:114], -0.5, v[46:47]
	v_add_f64 v[46:47], v[46:47], v[62:63]
	s_delay_alu instid0(VALU_DEP_4)
	v_add_f64 v[44:45], v[44:45], v[67:68]
	v_fma_f64 v[67:68], v[117:118], s[8:9], v[111:112]
	v_fma_f64 v[111:112], v[117:118], s[14:15], v[111:112]
	v_add_f64 v[62:63], v[62:63], -v[69:70]
	v_add_f64 v[46:47], v[46:47], v[69:70]
	v_add_f64 v[44:45], v[44:45], v[71:72]
	v_add_f64 v[69:70], v[75:76], -v[71:72]
	v_add_f64 v[71:72], v[77:78], -v[73:74]
	s_delay_alu instid0(VALU_DEP_4) | instskip(NEXT) | instid1(VALU_DEP_4)
	v_add_f64 v[46:47], v[46:47], v[73:74]
	v_add_f64 v[44:45], v[44:45], v[75:76]
	v_fma_f64 v[73:74], v[121:122], s[14:15], v[113:114]
	v_fma_f64 v[75:76], v[121:122], s[8:9], v[113:114]
	v_add_f64 v[69:70], v[60:61], v[69:70]
	v_fma_f64 v[60:61], v[115:116], s[0:1], v[67:68]
	v_fma_f64 v[67:68], v[115:116], s[2:3], v[111:112]
	v_add_f64 v[71:72], v[62:63], v[71:72]
	v_add_f64 v[46:47], v[46:47], v[77:78]
	v_fma_f64 v[62:63], v[119:120], s[2:3], v[73:74]
	v_fma_f64 v[73:74], v[119:120], s[0:1], v[75:76]
	;; [unrolled: 1-line block ×4, first 2 shown]
	s_delay_alu instid0(VALU_DEP_4) | instskip(NEXT) | instid1(VALU_DEP_4)
	v_fma_f64 v[62:63], v[71:72], s[16:17], v[62:63]
	v_fma_f64 v[69:70], v[71:72], s[16:17], v[73:74]
	scratch_load_b32 v71, off, off offset:4 ; 4-byte Folded Reload
	s_waitcnt vmcnt(0)
	ds_store_b128 v71, v[8:11] offset:1360
	ds_store_b128 v71, v[28:31] offset:1632
	;; [unrolled: 1-line block ×14, first 2 shown]
	v_add_f64 v[4:5], v[0:1], v[2:3]
	v_add_f64 v[0:1], v[81:82], -v[85:86]
	v_add_f64 v[2:3], v[93:94], -v[89:90]
	;; [unrolled: 1-line block ×6, first 2 shown]
	s_waitcnt lgkmcnt(15)
	v_add_f64 v[26:27], v[50:51], v[81:82]
	v_add_f64 v[28:29], v[83:84], -v[79:80]
	v_add_f64 v[34:35], v[87:88], -v[91:92]
	;; [unrolled: 1-line block ×6, first 2 shown]
	v_add_f64 v[6:7], v[0:1], v[2:3]
	v_add_f64 v[0:1], v[83:84], v[87:88]
	s_delay_alu instid0(VALU_DEP_1) | instskip(SKIP_1) | instid1(VALU_DEP_1)
	v_fma_f64 v[8:9], v[0:1], -0.5, v[48:49]
	v_add_f64 v[0:1], v[85:86], v[89:90]
	v_fma_f64 v[10:11], v[0:1], -0.5, v[50:51]
	s_delay_alu instid0(VALU_DEP_3) | instskip(SKIP_1) | instid1(VALU_DEP_3)
	v_fma_f64 v[0:1], v[12:13], s[8:9], v[8:9]
	v_fma_f64 v[8:9], v[12:13], s[14:15], v[8:9]
	;; [unrolled: 1-line block ×4, first 2 shown]
	s_delay_alu instid0(VALU_DEP_4) | instskip(NEXT) | instid1(VALU_DEP_4)
	v_fma_f64 v[0:1], v[14:15], s[0:1], v[0:1]
	v_fma_f64 v[8:9], v[14:15], s[2:3], v[8:9]
	s_delay_alu instid0(VALU_DEP_4) | instskip(NEXT) | instid1(VALU_DEP_4)
	v_fma_f64 v[2:3], v[18:19], s[2:3], v[2:3]
	v_fma_f64 v[10:11], v[18:19], s[0:1], v[10:11]
	;; [unrolled: 3-line block ×3, first 2 shown]
	v_add_f64 v[8:9], v[79:80], v[91:92]
	v_fma_f64 v[2:3], v[6:7], s[16:17], v[2:3]
	v_fma_f64 v[6:7], v[6:7], s[16:17], v[10:11]
	v_add_f64 v[10:11], v[81:82], v[93:94]
	s_delay_alu instid0(VALU_DEP_4) | instskip(NEXT) | instid1(VALU_DEP_2)
	v_fma_f64 v[8:9], v[8:9], -0.5, v[48:49]
	v_fma_f64 v[24:25], v[10:11], -0.5, v[50:51]
	v_add_f64 v[10:11], v[48:49], v[79:80]
	s_delay_alu instid0(VALU_DEP_3)
	v_fma_f64 v[30:31], v[14:15], s[14:15], v[8:9]
	v_fma_f64 v[14:15], v[14:15], s[8:9], v[8:9]
	v_add_f64 v[8:9], v[26:27], v[85:86]
	v_add_f64 v[26:27], v[85:86], -v[81:82]
	v_add_f64 v[48:49], v[107:108], -v[103:104]
	;; [unrolled: 1-line block ×3, first 2 shown]
	v_fma_f64 v[36:37], v[18:19], s[8:9], v[24:25]
	v_add_f64 v[10:11], v[10:11], v[83:84]
	v_fma_f64 v[18:19], v[18:19], s[14:15], v[24:25]
	v_add_f64 v[24:25], v[28:29], v[34:35]
	v_add_f64 v[32:33], v[8:9], v[89:90]
	v_fma_f64 v[28:29], v[12:13], s[0:1], v[30:31]
	v_fma_f64 v[30:31], v[12:13], s[2:3], v[14:15]
	;; [unrolled: 1-line block ×3, first 2 shown]
	v_add_f64 v[10:11], v[10:11], v[87:88]
	v_fma_f64 v[18:19], v[16:17], s[0:1], v[18:19]
	v_add_f64 v[36:37], v[101:102], -v[105:106]
	v_fma_f64 v[12:13], v[24:25], s[16:17], v[28:29]
	v_fma_f64 v[16:17], v[24:25], s[16:17], v[30:31]
	v_add_f64 v[24:25], v[99:100], -v[95:96]
	v_add_f64 v[8:9], v[10:11], v[91:92]
	v_add_f64 v[10:11], v[32:33], v[93:94]
	v_add_f64 v[32:33], v[89:90], -v[93:94]
	s_delay_alu instid0(VALU_DEP_1) | instskip(NEXT) | instid1(VALU_DEP_1)
	v_add_f64 v[26:27], v[26:27], v[32:33]
	v_fma_f64 v[14:15], v[26:27], s[16:17], v[14:15]
	v_fma_f64 v[18:19], v[26:27], s[16:17], v[18:19]
	v_add_f64 v[26:27], v[103:104], -v[107:108]
	s_delay_alu instid0(VALU_DEP_1) | instskip(SKIP_2) | instid1(VALU_DEP_1)
	v_add_f64 v[28:29], v[24:25], v[26:27]
	v_add_f64 v[24:25], v[101:102], -v[97:98]
	v_add_f64 v[26:27], v[105:106], -v[109:110]
	v_add_f64 v[30:31], v[24:25], v[26:27]
	v_add_f64 v[24:25], v[95:96], v[107:108]
	s_delay_alu instid0(VALU_DEP_1) | instskip(SKIP_1) | instid1(VALU_DEP_1)
	v_fma_f64 v[32:33], v[24:25], -0.5, v[20:21]
	v_add_f64 v[24:25], v[97:98], v[109:110]
	v_fma_f64 v[34:35], v[24:25], -0.5, v[22:23]
	s_delay_alu instid0(VALU_DEP_3) | instskip(SKIP_1) | instid1(VALU_DEP_3)
	v_fma_f64 v[24:25], v[36:37], s[14:15], v[32:33]
	v_fma_f64 v[32:33], v[36:37], s[8:9], v[32:33]
	;; [unrolled: 1-line block ×4, first 2 shown]
	s_delay_alu instid0(VALU_DEP_4) | instskip(NEXT) | instid1(VALU_DEP_4)
	v_fma_f64 v[24:25], v[38:39], s[0:1], v[24:25]
	v_fma_f64 v[32:33], v[38:39], s[2:3], v[32:33]
	s_delay_alu instid0(VALU_DEP_4) | instskip(NEXT) | instid1(VALU_DEP_4)
	v_fma_f64 v[26:27], v[42:43], s[2:3], v[26:27]
	v_fma_f64 v[34:35], v[42:43], s[0:1], v[34:35]
	;; [unrolled: 3-line block ×3, first 2 shown]
	v_add_f64 v[32:33], v[99:100], v[103:104]
	v_fma_f64 v[26:27], v[30:31], s[16:17], v[26:27]
	v_fma_f64 v[30:31], v[30:31], s[16:17], v[34:35]
	v_add_f64 v[34:35], v[101:102], v[105:106]
	s_delay_alu instid0(VALU_DEP_4) | instskip(SKIP_1) | instid1(VALU_DEP_3)
	v_fma_f64 v[32:33], v[32:33], -0.5, v[20:21]
	v_add_f64 v[20:21], v[20:21], v[95:96]
	v_fma_f64 v[34:35], v[34:35], -0.5, v[22:23]
	v_add_f64 v[22:23], v[22:23], v[97:98]
	s_delay_alu instid0(VALU_DEP_4) | instskip(NEXT) | instid1(VALU_DEP_4)
	v_fma_f64 v[46:47], v[38:39], s[8:9], v[32:33]
	v_add_f64 v[20:21], v[20:21], v[99:100]
	v_fma_f64 v[32:33], v[38:39], s[14:15], v[32:33]
	v_add_f64 v[38:39], v[97:98], -v[101:102]
	v_fma_f64 v[52:53], v[42:43], s[14:15], v[34:35]
	v_add_f64 v[22:23], v[22:23], v[101:102]
	v_fma_f64 v[34:35], v[42:43], s[8:9], v[34:35]
	v_add_f64 v[20:21], v[20:21], v[103:104]
	v_add_f64 v[42:43], v[44:45], v[48:49]
	v_fma_f64 v[44:45], v[36:37], s[0:1], v[46:47]
	v_add_f64 v[38:39], v[38:39], v[50:51]
	v_fma_f64 v[36:37], v[36:37], s[2:3], v[32:33]
	v_fma_f64 v[46:47], v[40:41], s[2:3], v[52:53]
	v_add_f64 v[22:23], v[22:23], v[105:106]
	v_fma_f64 v[40:41], v[40:41], s[0:1], v[34:35]
	v_add_f64 v[20:21], v[20:21], v[107:108]
	s_mov_b32 s2, 0xace01346
	v_fma_f64 v[32:33], v[42:43], s[16:17], v[44:45]
	s_mov_b32 s3, 0x3f634679
	v_fma_f64 v[36:37], v[42:43], s[16:17], v[36:37]
	s_mul_i32 s1, s5, 25
	v_fma_f64 v[34:35], v[38:39], s[16:17], v[46:47]
	v_add_f64 v[22:23], v[22:23], v[109:110]
	v_fma_f64 v[38:39], v[38:39], s[16:17], v[40:41]
	ds_store_b128 v71, v[8:11] offset:816
	ds_store_b128 v65, v[0:3] offset:1360
	ds_store_b128 v65, v[12:15] offset:2720
	ds_store_b128 v65, v[16:19] offset:4080
	ds_store_b128 v65, v[4:7] offset:5440
	ds_store_b128 v71, v[20:23] offset:1088
	ds_store_b128 v64, v[32:35] offset:1360
	ds_store_b128 v64, v[24:27] offset:2720
	ds_store_b128 v64, v[28:31] offset:4080
	ds_store_b128 v64, v[36:39] offset:5440
	s_waitcnt lgkmcnt(0)
	s_barrier
	buffer_gl0_inv
	ds_load_b128 v[0:3], v224
	ds_load_b128 v[4:7], v224 offset:400
	scratch_load_b128 v[24:27], off, off offset:392 ; 16-byte Folded Reload
	s_waitcnt vmcnt(0) lgkmcnt(1)
	v_mul_f64 v[16:17], v[26:27], v[2:3]
	v_mul_f64 v[18:19], v[26:27], v[0:1]
	scratch_load_b128 v[26:29], off, off offset:440 ; 16-byte Folded Reload
	ds_load_b128 v[8:11], v224 offset:800
	ds_load_b128 v[12:15], v224 offset:1200
	s_clause 0x4
	scratch_load_b128 v[61:64], off, off offset:376
	scratch_load_b128 v[57:60], off, off offset:360
	;; [unrolled: 1-line block ×5, first 2 shown]
	v_fma_f64 v[0:1], v[24:25], v[0:1], v[16:17]
	v_fma_f64 v[2:3], v[24:25], v[2:3], -v[18:19]
	scratch_load_b32 v25, off, off          ; 4-byte Folded Reload
	ds_load_b128 v[16:19], v224 offset:1600
	s_waitcnt vmcnt(6) lgkmcnt(3)
	v_mul_f64 v[20:21], v[28:29], v[6:7]
	v_mul_f64 v[22:23], v[28:29], v[4:5]
	s_waitcnt vmcnt(5) lgkmcnt(2)
	v_mul_f64 v[28:29], v[63:64], v[10:11]
	v_mul_f64 v[32:33], v[63:64], v[8:9]
	scratch_load_b128 v[63:66], off, off offset:312 ; 16-byte Folded Reload
	s_waitcnt vmcnt(5) lgkmcnt(1)
	v_mul_f64 v[40:41], v[59:60], v[14:15]
	v_mul_f64 v[42:43], v[59:60], v[12:13]
	v_fma_f64 v[34:35], v[26:27], v[4:5], v[20:21]
	scratch_load_b64 v[20:21], off, off offset:304 ; 8-byte Folded Reload
	v_fma_f64 v[36:37], v[26:27], v[6:7], -v[22:23]
	s_waitcnt vmcnt(2)
	v_mad_u64_u32 v[44:45], null, s4, v25, 0
	v_mov_b32_e32 v105, v71
	v_fma_f64 v[40:41], v[57:58], v[12:13], v[40:41]
	v_fma_f64 v[42:43], v[57:58], v[14:15], -v[42:43]
	ds_load_b128 v[4:7], v224 offset:2000
	ds_load_b128 v[12:15], v224 offset:3600
	v_mul_f64 v[26:27], v[2:3], s[2:3]
	v_mov_b32_e32 v24, v45
	s_delay_alu instid0(VALU_DEP_1)
	v_mad_u64_u32 v[54:55], null, s5, v25, v[24:25]
	v_mul_f64 v[24:25], v[0:1], s[2:3]
	v_fma_f64 v[0:1], v[61:62], v[8:9], v[28:29]
	ds_load_b128 v[28:31], v224 offset:2800
	v_fma_f64 v[55:56], v[61:62], v[10:11], -v[32:33]
	v_mov_b32_e32 v45, v54
	v_mul_f64 v[8:9], v[34:35], s[2:3]
	ds_load_b128 v[32:35], v224 offset:3200
	v_mul_f64 v[10:11], v[36:37], s[2:3]
	s_waitcnt vmcnt(1) lgkmcnt(4)
	v_mul_f64 v[46:47], v[65:66], v[18:19]
	v_mul_f64 v[48:49], v[65:66], v[16:17]
	s_waitcnt vmcnt(0)
	v_mov_b32_e32 v23, v20
	s_delay_alu instid0(VALU_DEP_3) | instskip(NEXT) | instid1(VALU_DEP_3)
	v_fma_f64 v[61:62], v[63:64], v[16:17], v[46:47]
	v_fma_f64 v[48:49], v[63:64], v[18:19], -v[48:49]
	s_delay_alu instid0(VALU_DEP_3) | instskip(SKIP_2) | instid1(SALU_CYCLE_1)
	v_mad_u64_u32 v[38:39], null, s6, v23, 0
	v_lshlrev_b64 v[16:17], 4, v[44:45]
	s_mul_hi_u32 s6, s4, 25
	s_add_i32 s1, s6, s1
	s_delay_alu instid0(VALU_DEP_2) | instskip(NEXT) | instid1(VALU_DEP_1)
	v_mov_b32_e32 v20, v39
	v_mad_u64_u32 v[21:22], null, s7, v23, v[20:21]
	s_delay_alu instid0(VALU_DEP_1) | instskip(SKIP_4) | instid1(VALU_DEP_1)
	v_mov_b32_e32 v39, v21
	ds_load_b128 v[20:23], v224 offset:2400
	v_lshlrev_b64 v[2:3], 4, v[38:39]
	ds_load_b128 v[36:39], v224 offset:4000
	v_add_co_u32 v2, s0, s10, v2
	v_add_co_ci_u32_e64 v3, s0, s11, v3, s0
	s_delay_alu instid0(VALU_DEP_2) | instskip(NEXT) | instid1(VALU_DEP_1)
	v_add_co_u32 v16, s0, v2, v16
	v_add_co_ci_u32_e64 v17, s0, v3, v17, s0
	s_mul_i32 s0, s4, 25
	s_waitcnt lgkmcnt(1)
	v_mul_f64 v[57:58], v[79:80], v[22:23]
	v_mul_f64 v[59:60], v[79:80], v[20:21]
	scratch_load_b128 v[79:82], off, off offset:192 ; 16-byte Folded Reload
	v_mul_f64 v[50:51], v[69:70], v[6:7]
	v_mul_f64 v[52:53], v[69:70], v[4:5]
	s_lshl_b64 s[6:7], s[0:1], 4
	global_store_b128 v[16:17], v[24:27], off
	v_add_co_u32 v75, s0, v16, s6
	s_delay_alu instid0(VALU_DEP_1)
	v_add_co_ci_u32_e64 v76, s0, s7, v17, s0
	ds_load_b128 v[16:19], v224 offset:4800
	v_mul_f64 v[24:25], v[40:41], s[2:3]
	v_mul_f64 v[26:27], v[42:43], s[2:3]
	global_store_b128 v[75:76], v[8:11], off
	v_mul_f64 v[8:9], v[0:1], s[2:3]
	v_mul_f64 v[10:11], v[55:56], s[2:3]
	ds_load_b128 v[40:43], v224 offset:5600
	v_add_co_u32 v75, s0, v75, s6
	s_delay_alu instid0(VALU_DEP_1) | instskip(NEXT) | instid1(VALU_DEP_2)
	v_add_co_ci_u32_e64 v76, s0, s7, v76, s0
	v_add_co_u32 v89, s0, v75, s6
	s_delay_alu instid0(VALU_DEP_1)
	v_add_co_ci_u32_e64 v90, s0, s7, v76, s0
	v_fma_f64 v[0:1], v[77:78], v[20:21], v[57:58]
	v_fma_f64 v[54:55], v[77:78], v[22:23], -v[59:60]
	ds_load_b128 v[20:23], v224 offset:5200
	v_fma_f64 v[50:51], v[67:68], v[4:5], v[50:51]
	v_fma_f64 v[52:53], v[67:68], v[6:7], -v[52:53]
	ds_load_b128 v[4:7], v224 offset:4400
	global_store_b128 v[75:76], v[8:11], off
	v_add_co_u32 v8, s0, v89, s6
	s_delay_alu instid0(VALU_DEP_1) | instskip(NEXT) | instid1(VALU_DEP_2)
	v_add_co_ci_u32_e64 v9, s0, s7, v90, s0
	v_add_co_u32 v10, s0, v8, s6
	s_delay_alu instid0(VALU_DEP_1)
	v_add_co_ci_u32_e64 v11, s0, s7, v9, s0
	s_waitcnt vmcnt(0)
	v_mul_f64 v[46:47], v[81:82], v[30:31]
	v_mul_f64 v[63:64], v[81:82], v[28:29]
	scratch_load_b128 v[81:84], off, off offset:208 ; 16-byte Folded Reload
	v_fma_f64 v[56:57], v[79:80], v[28:29], v[46:47]
	v_fma_f64 v[58:59], v[79:80], v[30:31], -v[63:64]
	ds_load_b128 v[28:31], v224 offset:6000
	s_waitcnt vmcnt(0)
	v_mul_f64 v[44:45], v[83:84], v[34:35]
	v_mul_f64 v[65:66], v[83:84], v[32:33]
	scratch_load_b128 v[83:86], off, off offset:224 ; 16-byte Folded Reload
	v_fma_f64 v[63:64], v[81:82], v[32:33], v[44:45]
	v_fma_f64 v[65:66], v[81:82], v[34:35], -v[65:66]
	v_mul_f64 v[32:33], v[61:62], s[2:3]
	v_mul_f64 v[34:35], v[48:49], s[2:3]
	;; [unrolled: 1-line block ×4, first 2 shown]
	s_waitcnt lgkmcnt(1)
	v_mul_f64 v[52:53], v[93:94], v[6:7]
	ds_load_b128 v[44:47], v224 offset:6400
	s_waitcnt vmcnt(0)
	v_mul_f64 v[67:68], v[85:86], v[14:15]
	v_mul_f64 v[69:70], v[85:86], v[12:13]
	scratch_load_b128 v[85:88], off, off offset:240 ; 16-byte Folded Reload
	v_fma_f64 v[60:61], v[83:84], v[12:13], v[67:68]
	v_mul_f64 v[12:13], v[93:94], v[4:5]
	scratch_load_b128 v[93:96], off, off offset:288 ; 16-byte Folded Reload
	v_fma_f64 v[67:68], v[83:84], v[14:15], -v[69:70]
	s_waitcnt vmcnt(1)
	v_mul_f64 v[71:72], v[87:88], v[38:39]
	v_mul_f64 v[73:74], v[87:88], v[36:37]
	s_waitcnt vmcnt(0)
	v_mul_f64 v[14:15], v[95:96], v[18:19]
	v_mul_f64 v[69:70], v[95:96], v[16:17]
	scratch_load_b128 v[95:98], off, off offset:328 ; 16-byte Folded Reload
	v_fma_f64 v[36:37], v[85:86], v[36:37], v[71:72]
	v_fma_f64 v[38:39], v[85:86], v[38:39], -v[73:74]
	s_waitcnt vmcnt(0)
	v_mul_f64 v[77:78], v[97:98], v[22:23]
	v_mul_f64 v[71:72], v[97:98], v[20:21]
	scratch_load_b128 v[97:100], off, off offset:344 ; 16-byte Folded Reload
	s_waitcnt vmcnt(0)
	v_mul_f64 v[73:74], v[99:100], v[42:43]
	v_mul_f64 v[79:80], v[99:100], v[40:41]
	scratch_load_b128 v[99:102], off, off offset:408 ; 16-byte Folded Reload
	v_fma_f64 v[40:41], v[97:98], v[40:41], v[73:74]
	v_fma_f64 v[42:43], v[97:98], v[42:43], -v[79:80]
	s_waitcnt vmcnt(0) lgkmcnt(1)
	v_mul_f64 v[81:82], v[101:102], v[30:31]
	v_mul_f64 v[83:84], v[101:102], v[28:29]
	scratch_load_b128 v[101:104], off, off offset:424 ; 16-byte Folded Reload
	s_clause 0x1
	global_store_b128 v[89:90], v[24:27], off
	global_store_b128 v[8:9], v[32:35], off
	global_store_b128 v[10:11], v[48:51], off
	v_fma_f64 v[24:25], v[91:92], v[4:5], v[52:53]
	v_fma_f64 v[26:27], v[91:92], v[6:7], -v[12:13]
	v_fma_f64 v[32:33], v[93:94], v[16:17], v[14:15]
	v_fma_f64 v[34:35], v[93:94], v[18:19], -v[69:70]
	;; [unrolled: 2-line block ×3, first 2 shown]
	v_mul_f64 v[4:5], v[0:1], s[2:3]
	v_mul_f64 v[6:7], v[54:55], s[2:3]
	v_add_co_u32 v0, s0, v10, s6
	s_delay_alu instid0(VALU_DEP_1) | instskip(SKIP_2) | instid1(VALU_DEP_4)
	v_add_co_ci_u32_e64 v1, s0, s7, v11, s0
	v_mul_f64 v[8:9], v[56:57], s[2:3]
	v_mul_f64 v[10:11], v[58:59], s[2:3]
	v_add_co_u32 v54, s0, v0, s6
	s_delay_alu instid0(VALU_DEP_1) | instskip(SKIP_1) | instid1(VALU_DEP_3)
	v_add_co_ci_u32_e64 v55, s0, s7, v1, s0
	v_mul_f64 v[12:13], v[63:64], s[2:3]
	v_add_co_u32 v56, s0, v54, s6
	v_mul_f64 v[14:15], v[65:66], s[2:3]
	s_delay_alu instid0(VALU_DEP_4)
	v_add_co_ci_u32_e64 v57, s0, s7, v55, s0
	v_mul_f64 v[16:17], v[60:61], s[2:3]
	v_mul_f64 v[18:19], v[67:68], s[2:3]
	;; [unrolled: 1-line block ×4, first 2 shown]
	v_add_co_u32 v58, s0, v56, s6
	s_delay_alu instid0(VALU_DEP_1)
	v_add_co_ci_u32_e64 v59, s0, s7, v57, s0
	v_mul_f64 v[36:37], v[40:41], s[2:3]
	v_mul_f64 v[38:39], v[42:43], s[2:3]
	v_fma_f64 v[52:53], v[99:100], v[28:29], v[81:82]
	v_fma_f64 v[69:70], v[99:100], v[30:31], -v[83:84]
	v_mul_f64 v[24:25], v[24:25], s[2:3]
	v_mul_f64 v[26:27], v[26:27], s[2:3]
	;; [unrolled: 1-line block ×6, first 2 shown]
	v_add_co_u32 v48, s0, v58, s6
	s_delay_alu instid0(VALU_DEP_1) | instskip(SKIP_2) | instid1(VALU_DEP_1)
	v_add_co_ci_u32_e64 v49, s0, s7, v59, s0
	global_store_b128 v[0:1], v[4:7], off
	v_add_co_u32 v0, s0, v48, s6
	v_add_co_ci_u32_e64 v1, s0, s7, v49, s0
	global_store_b128 v[54:55], v[8:11], off
	v_add_co_u32 v4, s0, v0, s6
	s_delay_alu instid0(VALU_DEP_1) | instskip(NEXT) | instid1(VALU_DEP_2)
	v_add_co_ci_u32_e64 v5, s0, s7, v1, s0
	v_add_co_u32 v6, s0, v4, s6
	s_delay_alu instid0(VALU_DEP_1) | instskip(SKIP_2) | instid1(VALU_DEP_1)
	v_add_co_ci_u32_e64 v7, s0, s7, v5, s0
	global_store_b128 v[56:57], v[12:15], off
	v_add_co_u32 v8, s0, v6, s6
	v_add_co_ci_u32_e64 v9, s0, s7, v7, s0
	global_store_b128 v[58:59], v[16:19], off
	v_add_co_u32 v10, s0, v8, s6
	s_delay_alu instid0(VALU_DEP_1)
	v_add_co_ci_u32_e64 v11, s0, s7, v9, s0
	v_mul_f64 v[40:41], v[52:53], s[2:3]
	v_mul_f64 v[42:43], v[69:70], s[2:3]
	global_store_b128 v[48:49], v[20:23], off
	global_store_b128 v[0:1], v[24:27], off
	v_add_co_u32 v0, s0, v10, s6
	s_delay_alu instid0(VALU_DEP_1) | instskip(SKIP_3) | instid1(VALU_DEP_2)
	v_add_co_ci_u32_e64 v1, s0, s7, v11, s0
	s_waitcnt vmcnt(0) lgkmcnt(0)
	v_mul_f64 v[85:86], v[103:104], v[46:47]
	v_mul_f64 v[87:88], v[103:104], v[44:45]
	v_fma_f64 v[44:45], v[101:102], v[44:45], v[85:86]
	s_delay_alu instid0(VALU_DEP_2) | instskip(NEXT) | instid1(VALU_DEP_2)
	v_fma_f64 v[46:47], v[101:102], v[46:47], -v[87:88]
	v_mul_f64 v[44:45], v[44:45], s[2:3]
	s_delay_alu instid0(VALU_DEP_2)
	v_mul_f64 v[46:47], v[46:47], s[2:3]
	global_store_b128 v[4:5], v[28:31], off
	global_store_b128 v[6:7], v[32:35], off
	;; [unrolled: 1-line block ×5, first 2 shown]
	s_and_b32 exec_lo, exec_lo, vcc_lo
	s_cbranch_execz .LBB0_15
; %bb.14:
	scratch_load_b64 v[18:19], off, off offset:160 ; 8-byte Folded Reload
	ds_load_b128 v[8:11], v105 offset:272
	v_mad_u64_u32 v[16:17], null, 0xffffe810, s4, v[0:1]
	s_mul_i32 s0, s5, 0xffffe810
	s_delay_alu instid0(SALU_CYCLE_1)
	s_sub_i32 s0, s0, s4
	s_delay_alu instid0(VALU_DEP_1) | instid1(SALU_CYCLE_1)
	v_add_nc_u32_e32 v17, s0, v17
	s_mul_i32 s0, s5, 0x320
	s_waitcnt vmcnt(0)
	global_load_b128 v[4:7], v[18:19], off offset:272
	s_waitcnt vmcnt(0) lgkmcnt(0)
	v_mul_f64 v[12:13], v[10:11], v[6:7]
	v_mul_f64 v[6:7], v[8:9], v[6:7]
	s_delay_alu instid0(VALU_DEP_2) | instskip(NEXT) | instid1(VALU_DEP_2)
	v_fma_f64 v[8:9], v[8:9], v[4:5], v[12:13]
	v_fma_f64 v[6:7], v[4:5], v[10:11], -v[6:7]
	s_delay_alu instid0(VALU_DEP_2) | instskip(NEXT) | instid1(VALU_DEP_2)
	v_mul_f64 v[4:5], v[8:9], s[2:3]
	v_mul_f64 v[6:7], v[6:7], s[2:3]
	global_store_b128 v[16:17], v[4:7], off
	global_load_b128 v[4:7], v[18:19], off offset:672
	ds_load_b128 v[8:11], v224 offset:672
	ds_load_b128 v[12:15], v224 offset:1072
	s_waitcnt vmcnt(0) lgkmcnt(1)
	v_mul_f64 v[0:1], v[10:11], v[6:7]
	v_mul_f64 v[6:7], v[8:9], v[6:7]
	s_delay_alu instid0(VALU_DEP_2) | instskip(NEXT) | instid1(VALU_DEP_2)
	v_fma_f64 v[0:1], v[8:9], v[4:5], v[0:1]
	v_fma_f64 v[6:7], v[4:5], v[10:11], -v[6:7]
	s_delay_alu instid0(VALU_DEP_2) | instskip(NEXT) | instid1(VALU_DEP_2)
	v_mul_f64 v[4:5], v[0:1], s[2:3]
	v_mul_f64 v[6:7], v[6:7], s[2:3]
	v_add_co_u32 v0, vcc_lo, v16, s6
	v_add_co_ci_u32_e32 v1, vcc_lo, s7, v17, vcc_lo
	global_store_b128 v[0:1], v[4:7], off
	global_load_b128 v[4:7], v[18:19], off offset:1072
	v_add_co_u32 v0, vcc_lo, v0, s6
	v_add_co_ci_u32_e32 v1, vcc_lo, s7, v1, vcc_lo
	s_waitcnt vmcnt(0) lgkmcnt(0)
	v_mul_f64 v[8:9], v[14:15], v[6:7]
	v_mul_f64 v[6:7], v[12:13], v[6:7]
	s_delay_alu instid0(VALU_DEP_2) | instskip(NEXT) | instid1(VALU_DEP_2)
	v_fma_f64 v[8:9], v[12:13], v[4:5], v[8:9]
	v_fma_f64 v[6:7], v[4:5], v[14:15], -v[6:7]
	s_delay_alu instid0(VALU_DEP_2) | instskip(NEXT) | instid1(VALU_DEP_2)
	v_mul_f64 v[4:5], v[8:9], s[2:3]
	v_mul_f64 v[6:7], v[6:7], s[2:3]
	global_store_b128 v[0:1], v[4:7], off
	global_load_b128 v[4:7], v[18:19], off offset:1472
	ds_load_b128 v[8:11], v224 offset:1472
	ds_load_b128 v[12:15], v224 offset:1872
	v_add_co_u32 v0, vcc_lo, v0, s6
	v_add_co_ci_u32_e32 v1, vcc_lo, s7, v1, vcc_lo
	s_waitcnt vmcnt(0) lgkmcnt(1)
	v_mul_f64 v[16:17], v[10:11], v[6:7]
	v_mul_f64 v[6:7], v[8:9], v[6:7]
	s_delay_alu instid0(VALU_DEP_2) | instskip(NEXT) | instid1(VALU_DEP_2)
	v_fma_f64 v[8:9], v[8:9], v[4:5], v[16:17]
	v_fma_f64 v[6:7], v[4:5], v[10:11], -v[6:7]
	s_delay_alu instid0(VALU_DEP_2) | instskip(NEXT) | instid1(VALU_DEP_2)
	v_mul_f64 v[4:5], v[8:9], s[2:3]
	v_mul_f64 v[6:7], v[6:7], s[2:3]
	global_store_b128 v[0:1], v[4:7], off
	global_load_b128 v[4:7], v[18:19], off offset:1872
	v_add_co_u32 v0, vcc_lo, v0, s6
	v_add_co_ci_u32_e32 v1, vcc_lo, s7, v1, vcc_lo
	s_waitcnt vmcnt(0) lgkmcnt(0)
	v_mul_f64 v[8:9], v[14:15], v[6:7]
	v_mul_f64 v[6:7], v[12:13], v[6:7]
	s_delay_alu instid0(VALU_DEP_2) | instskip(NEXT) | instid1(VALU_DEP_2)
	v_fma_f64 v[8:9], v[12:13], v[4:5], v[8:9]
	v_fma_f64 v[6:7], v[4:5], v[14:15], -v[6:7]
	s_delay_alu instid0(VALU_DEP_2) | instskip(NEXT) | instid1(VALU_DEP_2)
	v_mul_f64 v[4:5], v[8:9], s[2:3]
	v_mul_f64 v[6:7], v[6:7], s[2:3]
	global_store_b128 v[0:1], v[4:7], off
	global_load_b128 v[4:7], v[18:19], off offset:2272
	ds_load_b128 v[8:11], v224 offset:2272
	ds_load_b128 v[12:15], v224 offset:2672
	v_add_co_u32 v0, vcc_lo, v0, s6
	v_add_co_ci_u32_e32 v1, vcc_lo, s7, v1, vcc_lo
	s_waitcnt vmcnt(0) lgkmcnt(1)
	v_mul_f64 v[16:17], v[10:11], v[6:7]
	v_mul_f64 v[6:7], v[8:9], v[6:7]
	s_delay_alu instid0(VALU_DEP_2) | instskip(NEXT) | instid1(VALU_DEP_2)
	v_fma_f64 v[8:9], v[8:9], v[4:5], v[16:17]
	v_fma_f64 v[6:7], v[4:5], v[10:11], -v[6:7]
	s_delay_alu instid0(VALU_DEP_2) | instskip(NEXT) | instid1(VALU_DEP_2)
	v_mul_f64 v[4:5], v[8:9], s[2:3]
	v_mul_f64 v[6:7], v[6:7], s[2:3]
	global_store_b128 v[0:1], v[4:7], off
	global_load_b128 v[4:7], v[18:19], off offset:2672
	v_add_co_u32 v0, vcc_lo, v0, s6
	v_add_co_ci_u32_e32 v1, vcc_lo, s7, v1, vcc_lo
	s_waitcnt vmcnt(0) lgkmcnt(0)
	v_mul_f64 v[8:9], v[14:15], v[6:7]
	v_mul_f64 v[6:7], v[12:13], v[6:7]
	s_delay_alu instid0(VALU_DEP_2) | instskip(NEXT) | instid1(VALU_DEP_2)
	v_fma_f64 v[8:9], v[12:13], v[4:5], v[8:9]
	v_fma_f64 v[6:7], v[4:5], v[14:15], -v[6:7]
	s_delay_alu instid0(VALU_DEP_2) | instskip(NEXT) | instid1(VALU_DEP_2)
	v_mul_f64 v[4:5], v[8:9], s[2:3]
	v_mul_f64 v[6:7], v[6:7], s[2:3]
	global_store_b128 v[0:1], v[4:7], off
	global_load_b128 v[4:7], v[18:19], off offset:3072
	ds_load_b128 v[8:11], v224 offset:3072
	ds_load_b128 v[12:15], v224 offset:3472
	scratch_load_b32 v20, off, off offset:1408 ; 4-byte Folded Reload
	s_waitcnt vmcnt(1) lgkmcnt(1)
	v_mul_f64 v[16:17], v[10:11], v[6:7]
	v_mul_f64 v[6:7], v[8:9], v[6:7]
	s_delay_alu instid0(VALU_DEP_2) | instskip(NEXT) | instid1(VALU_DEP_2)
	v_fma_f64 v[8:9], v[8:9], v[4:5], v[16:17]
	v_fma_f64 v[6:7], v[4:5], v[10:11], -v[6:7]
	s_waitcnt vmcnt(0)
	v_mad_u64_u32 v[10:11], null, s4, v20, 0
	s_delay_alu instid0(VALU_DEP_3) | instskip(NEXT) | instid1(VALU_DEP_2)
	v_mul_f64 v[4:5], v[8:9], s[2:3]
	v_mov_b32_e32 v8, v11
	s_delay_alu instid0(VALU_DEP_4) | instskip(NEXT) | instid1(VALU_DEP_2)
	v_mul_f64 v[6:7], v[6:7], s[2:3]
	v_mad_u64_u32 v[16:17], null, s5, v20, v[8:9]
	s_delay_alu instid0(VALU_DEP_1) | instskip(SKIP_1) | instid1(VALU_DEP_2)
	v_mov_b32_e32 v11, v16
	v_mad_u64_u32 v[16:17], null, 0x320, s4, v[0:1]
	v_lshlrev_b64 v[8:9], 4, v[10:11]
	s_delay_alu instid0(VALU_DEP_2) | instskip(NEXT) | instid1(VALU_DEP_2)
	v_add_nc_u32_e32 v17, s0, v17
	v_add_co_u32 v8, vcc_lo, v2, v8
	s_delay_alu instid0(VALU_DEP_3)
	v_add_co_ci_u32_e32 v9, vcc_lo, v3, v9, vcc_lo
	global_store_b128 v[8:9], v[4:7], off
	global_load_b128 v[4:7], v[18:19], off offset:3472
	s_waitcnt vmcnt(0) lgkmcnt(0)
	v_mul_f64 v[8:9], v[14:15], v[6:7]
	v_mul_f64 v[6:7], v[12:13], v[6:7]
	s_delay_alu instid0(VALU_DEP_2) | instskip(NEXT) | instid1(VALU_DEP_2)
	v_fma_f64 v[8:9], v[12:13], v[4:5], v[8:9]
	v_fma_f64 v[6:7], v[4:5], v[14:15], -v[6:7]
	s_delay_alu instid0(VALU_DEP_2) | instskip(NEXT) | instid1(VALU_DEP_2)
	v_mul_f64 v[4:5], v[8:9], s[2:3]
	v_mul_f64 v[6:7], v[6:7], s[2:3]
	global_store_b128 v[16:17], v[4:7], off
	global_load_b128 v[4:7], v[18:19], off offset:3872
	ds_load_b128 v[8:11], v224 offset:3872
	ds_load_b128 v[12:15], v224 offset:4272
	scratch_load_b64 v[18:19], off, off offset:168 ; 8-byte Folded Reload
	s_waitcnt vmcnt(1) lgkmcnt(1)
	v_mul_f64 v[0:1], v[10:11], v[6:7]
	v_mul_f64 v[6:7], v[8:9], v[6:7]
	s_delay_alu instid0(VALU_DEP_2) | instskip(NEXT) | instid1(VALU_DEP_2)
	v_fma_f64 v[0:1], v[8:9], v[4:5], v[0:1]
	v_fma_f64 v[6:7], v[4:5], v[10:11], -v[6:7]
	s_delay_alu instid0(VALU_DEP_2) | instskip(NEXT) | instid1(VALU_DEP_2)
	v_mul_f64 v[4:5], v[0:1], s[2:3]
	v_mul_f64 v[6:7], v[6:7], s[2:3]
	v_add_co_u32 v0, vcc_lo, v16, s6
	v_add_co_ci_u32_e32 v1, vcc_lo, s7, v17, vcc_lo
	global_store_b128 v[0:1], v[4:7], off
	s_waitcnt vmcnt(0)
	global_load_b128 v[4:7], v[18:19], off offset:176
	v_add_co_u32 v0, vcc_lo, v0, s6
	v_add_co_ci_u32_e32 v1, vcc_lo, s7, v1, vcc_lo
	s_waitcnt vmcnt(0) lgkmcnt(0)
	v_mul_f64 v[8:9], v[14:15], v[6:7]
	v_mul_f64 v[6:7], v[12:13], v[6:7]
	s_delay_alu instid0(VALU_DEP_2) | instskip(NEXT) | instid1(VALU_DEP_2)
	v_fma_f64 v[8:9], v[12:13], v[4:5], v[8:9]
	v_fma_f64 v[6:7], v[4:5], v[14:15], -v[6:7]
	s_delay_alu instid0(VALU_DEP_2) | instskip(NEXT) | instid1(VALU_DEP_2)
	v_mul_f64 v[4:5], v[8:9], s[2:3]
	v_mul_f64 v[6:7], v[6:7], s[2:3]
	global_store_b128 v[0:1], v[4:7], off
	global_load_b128 v[4:7], v[18:19], off offset:576
	ds_load_b128 v[8:11], v224 offset:4672
	ds_load_b128 v[12:15], v224 offset:5072
	v_add_co_u32 v0, vcc_lo, v0, s6
	v_add_co_ci_u32_e32 v1, vcc_lo, s7, v1, vcc_lo
	s_waitcnt vmcnt(0) lgkmcnt(1)
	v_mul_f64 v[16:17], v[10:11], v[6:7]
	v_mul_f64 v[6:7], v[8:9], v[6:7]
	s_delay_alu instid0(VALU_DEP_2) | instskip(NEXT) | instid1(VALU_DEP_2)
	v_fma_f64 v[8:9], v[8:9], v[4:5], v[16:17]
	v_fma_f64 v[6:7], v[4:5], v[10:11], -v[6:7]
	s_delay_alu instid0(VALU_DEP_2) | instskip(NEXT) | instid1(VALU_DEP_2)
	v_mul_f64 v[4:5], v[8:9], s[2:3]
	v_mul_f64 v[6:7], v[6:7], s[2:3]
	global_store_b128 v[0:1], v[4:7], off
	global_load_b128 v[4:7], v[18:19], off offset:976
	v_add_co_u32 v0, vcc_lo, v0, s6
	v_add_co_ci_u32_e32 v1, vcc_lo, s7, v1, vcc_lo
	s_waitcnt vmcnt(0) lgkmcnt(0)
	v_mul_f64 v[8:9], v[14:15], v[6:7]
	v_mul_f64 v[6:7], v[12:13], v[6:7]
	s_delay_alu instid0(VALU_DEP_2) | instskip(NEXT) | instid1(VALU_DEP_2)
	v_fma_f64 v[8:9], v[12:13], v[4:5], v[8:9]
	v_fma_f64 v[6:7], v[4:5], v[14:15], -v[6:7]
	s_delay_alu instid0(VALU_DEP_2) | instskip(NEXT) | instid1(VALU_DEP_2)
	v_mul_f64 v[4:5], v[8:9], s[2:3]
	v_mul_f64 v[6:7], v[6:7], s[2:3]
	global_store_b128 v[0:1], v[4:7], off
	global_load_b128 v[4:7], v[18:19], off offset:1376
	ds_load_b128 v[8:11], v224 offset:5472
	ds_load_b128 v[12:15], v224 offset:5872
	v_add_co_u32 v0, vcc_lo, v0, s6
	v_add_co_ci_u32_e32 v1, vcc_lo, s7, v1, vcc_lo
	scratch_load_b32 v20, off, off offset:1404 ; 4-byte Folded Reload
	s_waitcnt vmcnt(1) lgkmcnt(1)
	v_mul_f64 v[16:17], v[10:11], v[6:7]
	v_mul_f64 v[6:7], v[8:9], v[6:7]
	s_delay_alu instid0(VALU_DEP_2) | instskip(NEXT) | instid1(VALU_DEP_2)
	v_fma_f64 v[8:9], v[8:9], v[4:5], v[16:17]
	v_fma_f64 v[6:7], v[4:5], v[10:11], -v[6:7]
	v_add_co_u32 v16, vcc_lo, v0, s6
	v_add_co_ci_u32_e32 v17, vcc_lo, s7, v1, vcc_lo
	s_delay_alu instid0(VALU_DEP_4) | instskip(NEXT) | instid1(VALU_DEP_4)
	v_mul_f64 v[4:5], v[8:9], s[2:3]
	v_mul_f64 v[6:7], v[6:7], s[2:3]
	global_store_b128 v[0:1], v[4:7], off
	global_load_b128 v[4:7], v[18:19], off offset:1776
	s_waitcnt vmcnt(1)
	v_lshlrev_b32_e32 v0, 4, v20
	s_waitcnt vmcnt(0) lgkmcnt(0)
	v_mul_f64 v[8:9], v[14:15], v[6:7]
	v_mul_f64 v[6:7], v[12:13], v[6:7]
	s_delay_alu instid0(VALU_DEP_2) | instskip(NEXT) | instid1(VALU_DEP_2)
	v_fma_f64 v[8:9], v[12:13], v[4:5], v[8:9]
	v_fma_f64 v[6:7], v[4:5], v[14:15], -v[6:7]
	s_delay_alu instid0(VALU_DEP_2) | instskip(NEXT) | instid1(VALU_DEP_2)
	v_mul_f64 v[4:5], v[8:9], s[2:3]
	v_mul_f64 v[6:7], v[6:7], s[2:3]
	global_store_b128 v[16:17], v[4:7], off
	global_load_b128 v[4:7], v0, s[12:13]
	ds_load_b128 v[8:11], v224 offset:6272
	ds_load_b128 v[12:15], v224 offset:6672
	s_waitcnt vmcnt(0) lgkmcnt(1)
	v_mul_f64 v[0:1], v[10:11], v[6:7]
	v_mul_f64 v[6:7], v[8:9], v[6:7]
	s_delay_alu instid0(VALU_DEP_2) | instskip(NEXT) | instid1(VALU_DEP_2)
	v_fma_f64 v[0:1], v[8:9], v[4:5], v[0:1]
	v_fma_f64 v[6:7], v[4:5], v[10:11], -v[6:7]
	v_mad_u64_u32 v[8:9], null, s4, v20, 0
	s_delay_alu instid0(VALU_DEP_3) | instskip(NEXT) | instid1(VALU_DEP_2)
	v_mul_f64 v[4:5], v[0:1], s[2:3]
	v_mov_b32_e32 v0, v9
	s_delay_alu instid0(VALU_DEP_4) | instskip(NEXT) | instid1(VALU_DEP_2)
	v_mul_f64 v[6:7], v[6:7], s[2:3]
	v_mad_u64_u32 v[9:10], null, s5, v20, v[0:1]
	s_delay_alu instid0(VALU_DEP_1) | instskip(NEXT) | instid1(VALU_DEP_1)
	v_lshlrev_b64 v[0:1], 4, v[8:9]
	v_add_co_u32 v0, vcc_lo, v2, v0
	s_delay_alu instid0(VALU_DEP_2)
	v_add_co_ci_u32_e32 v1, vcc_lo, v3, v1, vcc_lo
	global_store_b128 v[0:1], v[4:7], off
	global_load_b128 v[0:3], v[18:19], off offset:2576
	s_waitcnt vmcnt(0) lgkmcnt(0)
	v_mul_f64 v[4:5], v[14:15], v[2:3]
	v_mul_f64 v[2:3], v[12:13], v[2:3]
	s_delay_alu instid0(VALU_DEP_2) | instskip(NEXT) | instid1(VALU_DEP_2)
	v_fma_f64 v[4:5], v[12:13], v[0:1], v[4:5]
	v_fma_f64 v[2:3], v[0:1], v[14:15], -v[2:3]
	s_delay_alu instid0(VALU_DEP_2) | instskip(NEXT) | instid1(VALU_DEP_2)
	v_mul_f64 v[0:1], v[4:5], s[2:3]
	v_mul_f64 v[2:3], v[2:3], s[2:3]
	v_mad_u64_u32 v[4:5], null, 0x320, s4, v[16:17]
	s_delay_alu instid0(VALU_DEP_1)
	v_add_nc_u32_e32 v5, s0, v5
	global_store_b128 v[4:5], v[0:3], off
.LBB0_15:
	s_nop 0
	s_sendmsg sendmsg(MSG_DEALLOC_VGPRS)
	s_endpgm
	.section	.rodata,"a",@progbits
	.p2align	6, 0x0
	.amdhsa_kernel bluestein_single_back_len425_dim1_dp_op_CI_CI
		.amdhsa_group_segment_fixed_size 20400
		.amdhsa_private_segment_fixed_size 1548
		.amdhsa_kernarg_size 104
		.amdhsa_user_sgpr_count 15
		.amdhsa_user_sgpr_dispatch_ptr 0
		.amdhsa_user_sgpr_queue_ptr 0
		.amdhsa_user_sgpr_kernarg_segment_ptr 1
		.amdhsa_user_sgpr_dispatch_id 0
		.amdhsa_user_sgpr_private_segment_size 0
		.amdhsa_wavefront_size32 1
		.amdhsa_uses_dynamic_stack 0
		.amdhsa_enable_private_segment 1
		.amdhsa_system_sgpr_workgroup_id_x 1
		.amdhsa_system_sgpr_workgroup_id_y 0
		.amdhsa_system_sgpr_workgroup_id_z 0
		.amdhsa_system_sgpr_workgroup_info 0
		.amdhsa_system_vgpr_workitem_id 0
		.amdhsa_next_free_vgpr 256
		.amdhsa_next_free_sgpr 60
		.amdhsa_reserve_vcc 1
		.amdhsa_float_round_mode_32 0
		.amdhsa_float_round_mode_16_64 0
		.amdhsa_float_denorm_mode_32 3
		.amdhsa_float_denorm_mode_16_64 3
		.amdhsa_dx10_clamp 1
		.amdhsa_ieee_mode 1
		.amdhsa_fp16_overflow 0
		.amdhsa_workgroup_processor_mode 1
		.amdhsa_memory_ordered 1
		.amdhsa_forward_progress 0
		.amdhsa_shared_vgpr_count 0
		.amdhsa_exception_fp_ieee_invalid_op 0
		.amdhsa_exception_fp_denorm_src 0
		.amdhsa_exception_fp_ieee_div_zero 0
		.amdhsa_exception_fp_ieee_overflow 0
		.amdhsa_exception_fp_ieee_underflow 0
		.amdhsa_exception_fp_ieee_inexact 0
		.amdhsa_exception_int_div_zero 0
	.end_amdhsa_kernel
	.text
.Lfunc_end0:
	.size	bluestein_single_back_len425_dim1_dp_op_CI_CI, .Lfunc_end0-bluestein_single_back_len425_dim1_dp_op_CI_CI
                                        ; -- End function
	.section	.AMDGPU.csdata,"",@progbits
; Kernel info:
; codeLenInByte = 55292
; NumSgprs: 62
; NumVgprs: 256
; ScratchSize: 1548
; MemoryBound: 0
; FloatMode: 240
; IeeeMode: 1
; LDSByteSize: 20400 bytes/workgroup (compile time only)
; SGPRBlocks: 7
; VGPRBlocks: 31
; NumSGPRsForWavesPerEU: 62
; NumVGPRsForWavesPerEU: 256
; Occupancy: 3
; WaveLimiterHint : 1
; COMPUTE_PGM_RSRC2:SCRATCH_EN: 1
; COMPUTE_PGM_RSRC2:USER_SGPR: 15
; COMPUTE_PGM_RSRC2:TRAP_HANDLER: 0
; COMPUTE_PGM_RSRC2:TGID_X_EN: 1
; COMPUTE_PGM_RSRC2:TGID_Y_EN: 0
; COMPUTE_PGM_RSRC2:TGID_Z_EN: 0
; COMPUTE_PGM_RSRC2:TIDIG_COMP_CNT: 0
	.text
	.p2alignl 7, 3214868480
	.fill 96, 4, 3214868480
	.type	__hip_cuid_e3c4dd120a754de3,@object ; @__hip_cuid_e3c4dd120a754de3
	.section	.bss,"aw",@nobits
	.globl	__hip_cuid_e3c4dd120a754de3
__hip_cuid_e3c4dd120a754de3:
	.byte	0                               ; 0x0
	.size	__hip_cuid_e3c4dd120a754de3, 1

	.ident	"AMD clang version 19.0.0git (https://github.com/RadeonOpenCompute/llvm-project roc-6.4.0 25133 c7fe45cf4b819c5991fe208aaa96edf142730f1d)"
	.section	".note.GNU-stack","",@progbits
	.addrsig
	.addrsig_sym __hip_cuid_e3c4dd120a754de3
	.amdgpu_metadata
---
amdhsa.kernels:
  - .args:
      - .actual_access:  read_only
        .address_space:  global
        .offset:         0
        .size:           8
        .value_kind:     global_buffer
      - .actual_access:  read_only
        .address_space:  global
        .offset:         8
        .size:           8
        .value_kind:     global_buffer
      - .actual_access:  read_only
        .address_space:  global
        .offset:         16
        .size:           8
        .value_kind:     global_buffer
      - .actual_access:  read_only
        .address_space:  global
        .offset:         24
        .size:           8
        .value_kind:     global_buffer
      - .actual_access:  read_only
        .address_space:  global
        .offset:         32
        .size:           8
        .value_kind:     global_buffer
      - .offset:         40
        .size:           8
        .value_kind:     by_value
      - .address_space:  global
        .offset:         48
        .size:           8
        .value_kind:     global_buffer
      - .address_space:  global
        .offset:         56
        .size:           8
        .value_kind:     global_buffer
      - .address_space:  global
        .offset:         64
        .size:           8
        .value_kind:     global_buffer
      - .address_space:  global
        .offset:         72
        .size:           8
        .value_kind:     global_buffer
      - .offset:         80
        .size:           4
        .value_kind:     by_value
      - .address_space:  global
        .offset:         88
        .size:           8
        .value_kind:     global_buffer
      - .address_space:  global
        .offset:         96
        .size:           8
        .value_kind:     global_buffer
    .group_segment_fixed_size: 20400
    .kernarg_segment_align: 8
    .kernarg_segment_size: 104
    .language:       OpenCL C
    .language_version:
      - 2
      - 0
    .max_flat_workgroup_size: 51
    .name:           bluestein_single_back_len425_dim1_dp_op_CI_CI
    .private_segment_fixed_size: 1548
    .sgpr_count:     62
    .sgpr_spill_count: 0
    .symbol:         bluestein_single_back_len425_dim1_dp_op_CI_CI.kd
    .uniform_work_group_size: 1
    .uses_dynamic_stack: false
    .vgpr_count:     256
    .vgpr_spill_count: 598
    .wavefront_size: 32
    .workgroup_processor_mode: 1
amdhsa.target:   amdgcn-amd-amdhsa--gfx1100
amdhsa.version:
  - 1
  - 2
...

	.end_amdgpu_metadata
